;; amdgpu-corpus repo=ROCm/rocFFT kind=compiled arch=gfx950 opt=O3
	.text
	.amdgcn_target "amdgcn-amd-amdhsa--gfx950"
	.amdhsa_code_object_version 6
	.protected	fft_rtc_fwd_len168_factors_2_3_4_7_wgs_252_tpt_14_dim2_sp_ip_CI_sbcc_twdbase8_2step_dirReg ; -- Begin function fft_rtc_fwd_len168_factors_2_3_4_7_wgs_252_tpt_14_dim2_sp_ip_CI_sbcc_twdbase8_2step_dirReg
	.globl	fft_rtc_fwd_len168_factors_2_3_4_7_wgs_252_tpt_14_dim2_sp_ip_CI_sbcc_twdbase8_2step_dirReg
	.p2align	8
	.type	fft_rtc_fwd_len168_factors_2_3_4_7_wgs_252_tpt_14_dim2_sp_ip_CI_sbcc_twdbase8_2step_dirReg,@function
fft_rtc_fwd_len168_factors_2_3_4_7_wgs_252_tpt_14_dim2_sp_ip_CI_sbcc_twdbase8_2step_dirReg: ; @fft_rtc_fwd_len168_factors_2_3_4_7_wgs_252_tpt_14_dim2_sp_ip_CI_sbcc_twdbase8_2step_dirReg
; %bb.0:
	s_load_dwordx4 s[4:7], s[0:1], 0x10
	s_mov_b32 s3, 0
	s_mov_b64 s[16:17], -1
	s_waitcnt lgkmcnt(0)
	s_load_dwordx2 s[12:13], s[4:5], 0x8
	s_load_dwordx2 s[10:11], s[0:1], 0x50
	;; [unrolled: 1-line block ×3, first 2 shown]
	s_waitcnt lgkmcnt(0)
	s_add_u32 s4, s12, -1
	s_addc_u32 s5, s13, -1
	s_add_u32 s14, 0, 0x38e27e00
	s_addc_u32 s15, 0, 62
	s_add_i32 s15, s15, 0xe38e350
	s_mul_hi_u32 s21, s14, 0xffffffee
	s_sub_i32 s21, s21, s14
	s_mul_i32 s22, s15, 0xffffffee
	s_mul_i32 s18, s14, 0xffffffee
	s_add_i32 s21, s21, s22
	s_mul_hi_u32 s19, s15, s18
	s_mul_i32 s20, s15, s18
	s_mul_i32 s23, s14, s21
	s_mul_hi_u32 s18, s14, s18
	s_mul_hi_u32 s22, s14, s21
	s_add_u32 s18, s18, s23
	s_addc_u32 s22, 0, s22
	s_add_u32 s18, s18, s20
	s_mul_hi_u32 s23, s15, s21
	s_addc_u32 s18, s22, s19
	s_addc_u32 s19, s23, 0
	s_mul_i32 s20, s15, s21
	s_add_u32 s18, s18, s20
	v_mov_b32_e32 v1, s18
	s_addc_u32 s19, 0, s19
	v_add_co_u32_e32 v1, vcc, s14, v1
	s_cmp_lg_u64 vcc, 0
	s_addc_u32 s14, s15, s19
	v_readfirstlane_b32 s19, v1
	s_mul_i32 s18, s4, s14
	s_mul_hi_u32 s20, s4, s19
	s_mul_hi_u32 s15, s4, s14
	s_add_u32 s18, s20, s18
	s_addc_u32 s15, 0, s15
	s_mul_hi_u32 s21, s5, s19
	s_mul_i32 s19, s5, s19
	s_add_u32 s18, s18, s19
	s_mul_hi_u32 s20, s5, s14
	s_addc_u32 s15, s15, s21
	s_addc_u32 s18, s20, 0
	s_mul_i32 s14, s5, s14
	s_add_u32 s14, s15, s14
	s_addc_u32 s15, 0, s18
	s_add_u32 s18, s14, 1
	s_addc_u32 s19, s15, 0
	s_add_u32 s20, s14, 2
	s_mul_i32 s22, s15, 18
	s_mul_hi_u32 s23, s14, 18
	s_addc_u32 s21, s15, 0
	s_add_i32 s23, s23, s22
	s_mul_i32 s22, s14, 18
	v_mov_b32_e32 v1, s22
	v_sub_co_u32_e32 v1, vcc, s4, v1
	s_cmp_lg_u64 vcc, 0
	s_subb_u32 s4, s5, s23
	v_subrev_co_u32_e32 v2, vcc, 18, v1
	s_cmp_lg_u64 vcc, 0
	s_subb_u32 s5, s4, 0
	v_readfirstlane_b32 s22, v2
	s_cmp_gt_u32 s22, 17
	s_cselect_b32 s22, -1, 0
	s_cmp_eq_u32 s5, 0
	s_cselect_b32 s5, s22, -1
	s_cmp_lg_u32 s5, 0
	s_cselect_b32 s5, s20, s18
	s_cselect_b32 s18, s21, s19
	v_readfirstlane_b32 s19, v1
	s_cmp_gt_u32 s19, 17
	s_cselect_b32 s19, -1, 0
	s_cmp_eq_u32 s4, 0
	s_cselect_b32 s4, s19, -1
	s_cmp_lg_u32 s4, 0
	s_cselect_b32 s4, s5, s14
	s_cselect_b32 s15, s18, s15
	s_add_u32 s4, s4, 1
	s_addc_u32 s5, s15, 0
	v_mov_b64_e32 v[2:3], s[4:5]
	v_cmp_lt_u64_e32 vcc, s[2:3], v[2:3]
	s_mov_b64 s[18:19], 0
	s_cbranch_vccnz .LBB0_2
; %bb.1:
	v_cvt_f32_u32_e32 v1, s4
	s_sub_i32 s3, 0, s4
	v_rcp_iflag_f32_e32 v1, v1
	s_nop 0
	v_mul_f32_e32 v1, 0x4f7ffffe, v1
	v_cvt_u32_f32_e32 v1, v1
	s_nop 0
	v_readfirstlane_b32 s14, v1
	s_mul_i32 s3, s3, s14
	s_mul_hi_u32 s3, s14, s3
	s_add_i32 s14, s14, s3
	s_mul_hi_u32 s3, s2, s14
	s_mul_i32 s15, s3, s4
	s_sub_i32 s15, s2, s15
	s_add_i32 s14, s3, 1
	s_sub_i32 s18, s15, s4
	s_cmp_ge_u32 s15, s4
	s_cselect_b32 s3, s14, s3
	s_cselect_b32 s15, s18, s15
	s_add_i32 s14, s3, 1
	s_cmp_ge_u32 s15, s4
	s_cselect_b32 s18, s14, s3
.LBB0_2:
	s_mul_i32 s3, s18, s5
	s_mul_hi_u32 s5, s18, s4
	s_add_i32 s5, s5, s3
	s_mul_i32 s3, s18, s4
	s_sub_u32 s2, s2, s3
	s_subb_u32 s3, 0, s5
	s_load_dwordx4 s[4:7], s[6:7], 0x8
	s_mul_i32 s19, s3, 18
	s_mul_hi_u32 s3, s2, 18
	s_mul_i32 s21, s2, 18
	s_add_i32 s20, s3, s19
	s_waitcnt lgkmcnt(0)
	s_mul_i32 s22, s21, s5
	s_mul_hi_u32 s23, s21, s4
	s_mul_i32 s3, s20, s4
	s_add_i32 s22, s23, s22
	s_mul_i32 s7, s7, s18
	s_mul_hi_u32 s23, s6, s18
	v_mul_u32_u24_e32 v1, 0xe39, v0
	s_add_i32 s22, s22, s3
	s_mul_i32 s3, s21, s4
	s_add_i32 s23, s23, s7
	s_mul_i32 s6, s6, s18
	v_lshrrev_b32_e32 v80, 16, v1
	s_add_u32 s6, s6, s3
	v_mul_lo_u16_e32 v1, 18, v80
	s_load_dwordx2 s[14:15], s[0:1], 0x0
	s_addc_u32 s7, s23, s22
	v_sub_u16_e32 v14, v0, v1
	v_mov_b32_e32 v15, 0
	v_mad_u64_u32 v[16:17], s[2:3], s2, 18, v[14:15]
	s_add_u32 s18, s21, 18
	v_add_u32_e32 v17, s19, v17
	s_addc_u32 s19, s20, 0
	v_mov_b64_e32 v[2:3], s[12:13]
	v_cmp_gt_u64_e32 vcc, s[18:19], v[2:3]
	v_cmp_le_u64_e64 s[2:3], s[18:19], v[2:3]
	s_and_b64 vcc, exec, vcc
	v_add_u32_e32 v30, 14, v80
	v_add_u32_e32 v31, 28, v80
	;; [unrolled: 1-line block ×4, first 2 shown]
	s_cbranch_vccnz .LBB0_4
; %bb.3:
	v_mad_u64_u32 v[2:3], s[16:17], s4, v14, 0
	v_mov_b32_e32 v4, v3
	v_mad_u64_u32 v[4:5], s[16:17], s5, v14, v[4:5]
	v_mov_b32_e32 v3, v4
	v_mad_u64_u32 v[4:5], s[16:17], s8, v80, 0
	v_mov_b32_e32 v6, v5
	v_mad_u64_u32 v[6:7], s[16:17], s9, v80, v[6:7]
	s_lshl_b64 s[16:17], s[6:7], 3
	s_add_u32 s16, s10, s16
	s_addc_u32 s17, s11, s17
	v_add_u32_e32 v1, 0x54, v80
	v_mov_b32_e32 v5, v6
	v_lshl_add_u64 v[22:23], v[2:3], 3, s[16:17]
	v_mad_u64_u32 v[2:3], s[16:17], s8, v1, 0
	v_lshl_add_u64 v[10:11], v[4:5], 3, v[22:23]
	v_mov_b32_e32 v4, v3
	v_mad_u64_u32 v[4:5], s[16:17], s9, v1, v[4:5]
	v_mov_b32_e32 v3, v4
	v_add_u32_e32 v15, 14, v80
	v_lshl_add_u64 v[12:13], v[2:3], 3, v[22:23]
	v_mad_u64_u32 v[2:3], s[16:17], s8, v15, 0
	v_mov_b32_e32 v4, v3
	v_mad_u64_u32 v[4:5], s[16:17], s9, v15, v[4:5]
	v_mov_b32_e32 v3, v4
	v_add_u32_e32 v1, 0x62, v80
	v_lshl_add_u64 v[18:19], v[2:3], 3, v[22:23]
	v_mad_u64_u32 v[2:3], s[16:17], s8, v1, 0
	v_mov_b32_e32 v4, v3
	v_mad_u64_u32 v[4:5], s[16:17], s9, v1, v[4:5]
	v_mov_b32_e32 v3, v4
	v_add_u32_e32 v1, 28, v80
	v_lshl_add_u64 v[20:21], v[2:3], 3, v[22:23]
	global_load_dwordx2 v[6:7], v[10:11], off
	global_load_dwordx2 v[8:9], v[12:13], off
	;; [unrolled: 1-line block ×4, first 2 shown]
	v_mad_u64_u32 v[10:11], s[16:17], s8, v1, 0
	v_mov_b32_e32 v12, v11
	v_mad_u64_u32 v[12:13], s[16:17], s9, v1, v[12:13]
	v_mov_b32_e32 v11, v12
	v_or_b32_e32 v13, 0x70, v80
	v_lshl_add_u64 v[24:25], v[10:11], 3, v[22:23]
	v_mad_u64_u32 v[10:11], s[16:17], s8, v13, 0
	v_mov_b32_e32 v12, v11
	v_mad_u64_u32 v[12:13], s[16:17], s9, v13, v[12:13]
	v_mov_b32_e32 v11, v12
	v_add_u32_e32 v34, 42, v80
	v_lshl_add_u64 v[26:27], v[10:11], 3, v[22:23]
	v_mad_u64_u32 v[10:11], s[16:17], s8, v34, 0
	v_mov_b32_e32 v12, v11
	v_mad_u64_u32 v[12:13], s[16:17], s9, v34, v[12:13]
	v_mov_b32_e32 v11, v12
	v_add_u32_e32 v13, 0x7e, v80
	;; [unrolled: 6-line block ×3, first 2 shown]
	v_lshl_add_u64 v[36:37], v[10:11], 3, v[22:23]
	global_load_dwordx2 v[10:11], v[24:25], off
	global_load_dwordx2 v[18:19], v[26:27], off
	;; [unrolled: 1-line block ×4, first 2 shown]
	v_mad_u64_u32 v[24:25], s[16:17], s8, v35, 0
	v_mov_b32_e32 v26, v25
	v_mad_u64_u32 v[26:27], s[16:17], s9, v35, v[26:27]
	v_mov_b32_e32 v25, v26
	v_add_u32_e32 v27, 0x8c, v80
	v_lshl_add_u64 v[36:37], v[24:25], 3, v[22:23]
	v_mad_u64_u32 v[24:25], s[16:17], s8, v27, 0
	v_mov_b32_e32 v26, v25
	v_mad_u64_u32 v[26:27], s[16:17], s9, v27, v[26:27]
	v_mov_b32_e32 v25, v26
	v_add_u32_e32 v27, 0x46, v80
	v_lshl_add_u64 v[38:39], v[24:25], 3, v[22:23]
	;; [unrolled: 6-line block ×3, first 2 shown]
	v_mad_u64_u32 v[24:25], s[16:17], s8, v27, 0
	v_mov_b32_e32 v26, v25
	v_mad_u64_u32 v[26:27], s[16:17], s9, v27, v[26:27]
	v_mov_b32_e32 v25, v26
	v_lshl_add_u64 v[42:43], v[24:25], 3, v[22:23]
	global_load_dwordx2 v[22:23], v[36:37], off
	global_load_dwordx2 v[26:27], v[38:39], off
	;; [unrolled: 1-line block ×4, first 2 shown]
	s_cbranch_execz .LBB0_5
	s_branch .LBB0_10
.LBB0_4:
                                        ; implicit-def: $vgpr5
                                        ; implicit-def: $vgpr3
                                        ; implicit-def: $vgpr19
                                        ; implicit-def: $vgpr11
                                        ; implicit-def: $vgpr21
                                        ; implicit-def: $vgpr13
                                        ; implicit-def: $vgpr27
                                        ; implicit-def: $vgpr23
                                        ; implicit-def: $vgpr29
                                        ; implicit-def: $vgpr25
                                        ; implicit-def: $vgpr9
                                        ; implicit-def: $vgpr7
                                        ; implicit-def: $vgpr15
                                        ; implicit-def: $vgpr1
                                        ; implicit-def: $vgpr34
                                        ; implicit-def: $vgpr35
	s_andn2_b64 vcc, exec, s[16:17]
	s_cbranch_vccnz .LBB0_10
.LBB0_5:
	v_cmp_le_u64_e32 vcc, s[12:13], v[16:17]
                                        ; implicit-def: $vgpr15
                                        ; implicit-def: $vgpr1
                                        ; implicit-def: $vgpr34
                                        ; implicit-def: $vgpr35
	s_and_saveexec_b64 s[16:17], vcc
	s_xor_b64 s[16:17], exec, s[16:17]
; %bb.6:
	v_add_u32_e32 v15, 14, v80
	v_add_u32_e32 v1, 28, v80
	v_add_u32_e32 v34, 42, v80
	v_add_u32_e32 v35, 56, v80
                                        ; implicit-def: $vgpr30
                                        ; implicit-def: $vgpr31
                                        ; implicit-def: $vgpr32
                                        ; implicit-def: $vgpr33
; %bb.7:
	s_or_saveexec_b64 s[16:17], s[16:17]
                                        ; implicit-def: $vgpr5
                                        ; implicit-def: $vgpr3
                                        ; implicit-def: $vgpr19
                                        ; implicit-def: $vgpr11
                                        ; implicit-def: $vgpr21
                                        ; implicit-def: $vgpr13
                                        ; implicit-def: $vgpr27
                                        ; implicit-def: $vgpr23
                                        ; implicit-def: $vgpr29
                                        ; implicit-def: $vgpr25
                                        ; implicit-def: $vgpr9
                                        ; implicit-def: $vgpr7
	s_xor_b64 exec, exec, s[16:17]
	s_cbranch_execz .LBB0_9
; %bb.8:
	s_waitcnt vmcnt(9)
	v_mad_u64_u32 v[2:3], s[18:19], s4, v14, 0
	s_waitcnt vmcnt(8)
	v_mov_b32_e32 v4, v3
	v_mad_u64_u32 v[4:5], s[18:19], s5, v14, v[4:5]
	v_mov_b32_e32 v3, v4
	v_mad_u64_u32 v[4:5], s[18:19], s8, v80, 0
	;; [unrolled: 2-line block ×3, first 2 shown]
	s_lshl_b64 s[18:19], s[6:7], 3
	s_add_u32 s18, s10, s18
	s_addc_u32 s19, s11, s19
	v_add_u32_e32 v1, 0x54, v80
	v_mov_b32_e32 v5, v6
	s_waitcnt vmcnt(3)
	v_lshl_add_u64 v[22:23], v[2:3], 3, s[18:19]
	v_mad_u64_u32 v[2:3], s[18:19], s8, v1, 0
	v_lshl_add_u64 v[10:11], v[4:5], 3, v[22:23]
	v_mov_b32_e32 v4, v3
	v_mad_u64_u32 v[4:5], s[18:19], s9, v1, v[4:5]
	v_mov_b32_e32 v3, v4
	v_lshl_add_u64 v[12:13], v[2:3], 3, v[22:23]
	v_mad_u64_u32 v[2:3], s[18:19], s8, v30, 0
	v_mov_b32_e32 v4, v3
	v_mad_u64_u32 v[4:5], s[18:19], s9, v30, v[4:5]
	v_mov_b32_e32 v3, v4
	v_add_u32_e32 v1, 0x62, v80
	v_lshl_add_u64 v[18:19], v[2:3], 3, v[22:23]
	v_mad_u64_u32 v[2:3], s[18:19], s8, v1, 0
	v_mov_b32_e32 v4, v3
	v_mad_u64_u32 v[4:5], s[18:19], s9, v1, v[4:5]
	v_mov_b32_e32 v3, v4
	v_lshl_add_u64 v[20:21], v[2:3], 3, v[22:23]
	global_load_dwordx2 v[6:7], v[10:11], off
	global_load_dwordx2 v[8:9], v[12:13], off
	;; [unrolled: 1-line block ×4, first 2 shown]
	v_mad_u64_u32 v[10:11], s[18:19], s8, v31, 0
	v_mov_b32_e32 v12, v11
	v_mad_u64_u32 v[12:13], s[18:19], s9, v31, v[12:13]
	v_mov_b32_e32 v11, v12
	v_or_b32_e32 v1, 0x70, v80
	s_waitcnt vmcnt(5)
	v_lshl_add_u64 v[24:25], v[10:11], 3, v[22:23]
	v_mad_u64_u32 v[10:11], s[18:19], s8, v1, 0
	v_mov_b32_e32 v12, v11
	v_mad_u64_u32 v[12:13], s[18:19], s9, v1, v[12:13]
	v_mov_b32_e32 v11, v12
	v_lshl_add_u64 v[26:27], v[10:11], 3, v[22:23]
	v_mad_u64_u32 v[10:11], s[18:19], s8, v32, 0
	v_mov_b32_e32 v12, v11
	v_mad_u64_u32 v[12:13], s[18:19], s9, v32, v[12:13]
	v_mov_b32_e32 v11, v12
	v_add_u32_e32 v1, 0x7e, v80
	s_waitcnt vmcnt(4)
	v_lshl_add_u64 v[28:29], v[10:11], 3, v[22:23]
	v_mad_u64_u32 v[10:11], s[18:19], s8, v1, 0
	v_mov_b32_e32 v12, v11
	v_mad_u64_u32 v[12:13], s[18:19], s9, v1, v[12:13]
	v_mov_b32_e32 v11, v12
	v_lshl_add_u64 v[34:35], v[10:11], 3, v[22:23]
	global_load_dwordx2 v[10:11], v[24:25], off
	global_load_dwordx2 v[18:19], v[26:27], off
	;; [unrolled: 1-line block ×4, first 2 shown]
	v_mad_u64_u32 v[24:25], s[18:19], s8, v33, 0
	v_mov_b32_e32 v26, v25
	v_mad_u64_u32 v[26:27], s[18:19], s9, v33, v[26:27]
	v_mov_b32_e32 v25, v26
	v_add_u32_e32 v1, 0x8c, v80
	v_lshl_add_u64 v[34:35], v[24:25], 3, v[22:23]
	v_mad_u64_u32 v[24:25], s[18:19], s8, v1, 0
	v_mov_b32_e32 v26, v25
	v_mad_u64_u32 v[26:27], s[18:19], s9, v1, v[26:27]
	v_mov_b32_e32 v25, v26
	v_add_u32_e32 v1, 0x46, v80
	v_lshl_add_u64 v[36:37], v[24:25], 3, v[22:23]
	;; [unrolled: 6-line block ×3, first 2 shown]
	v_mad_u64_u32 v[24:25], s[18:19], s8, v1, 0
	v_mov_b32_e32 v26, v25
	v_mad_u64_u32 v[26:27], s[18:19], s9, v1, v[26:27]
	v_mov_b32_e32 v25, v26
	v_lshl_add_u64 v[40:41], v[24:25], 3, v[22:23]
	global_load_dwordx2 v[22:23], v[34:35], off
	global_load_dwordx2 v[26:27], v[36:37], off
	;; [unrolled: 1-line block ×4, first 2 shown]
	v_mov_b32_e32 v15, v30
	v_mov_b32_e32 v1, v31
	;; [unrolled: 1-line block ×4, first 2 shown]
.LBB0_9:
	s_or_b64 exec, exec, s[16:17]
.LBB0_10:
	s_waitcnt vmcnt(10)
	v_pk_add_f32 v[8:9], v[6:7], v[8:9] neg_lo:[0,1] neg_hi:[0,1]
	v_mul_u32_u24_e32 v30, 0x120, v80
	v_lshlrev_b32_e32 v47, 3, v14
	v_add3_u32 v30, 0, v30, v47
	v_pk_fma_f32 v[6:7], v[6:7], 2.0, v[8:9] op_sel_hi:[1,0,1] neg_lo:[0,0,1] neg_hi:[0,0,1]
	s_waitcnt vmcnt(8)
	v_pk_add_f32 v[4:5], v[2:3], v[4:5] neg_lo:[0,1] neg_hi:[0,1]
	ds_write2_b64 v30, v[6:7], v[8:9] offset1:18
	v_mul_i32_i24_e32 v6, 0x120, v15
	v_add3_u32 v8, 0, v6, v47
	v_pk_fma_f32 v[2:3], v[2:3], 2.0, v[4:5] op_sel_hi:[1,0,1] neg_lo:[0,0,1] neg_hi:[0,0,1]
	s_waitcnt vmcnt(6)
	v_pk_add_f32 v[18:19], v[10:11], v[18:19] neg_lo:[0,1] neg_hi:[0,1]
	ds_write2_b64 v8, v[2:3], v[4:5] offset1:18
	v_mul_i32_i24_e32 v2, 0x120, v1
	;; [unrolled: 6-line block ×4, first 2 shown]
	s_waitcnt vmcnt(0)
	v_pk_add_f32 v[28:29], v[24:25], v[28:29] neg_lo:[0,1] neg_hi:[0,1]
	v_add3_u32 v11, 0, v2, v47
	v_pk_fma_f32 v[2:3], v[22:23], 2.0, v[26:27] op_sel_hi:[1,0,1] neg_lo:[0,0,1] neg_hi:[0,0,1]
	ds_write2_b64 v11, v[2:3], v[26:27] offset1:18
	v_pk_fma_f32 v[2:3], v[24:25], 2.0, v[28:29] op_sel_hi:[1,0,1] neg_lo:[0,0,1] neg_hi:[0,0,1]
	v_add_u32_e32 v4, 0x4800, v30
	v_and_b32_e32 v12, 1, v80
	ds_write2_b64 v4, v[2:3], v[28:29] offset0:216 offset1:234
	v_lshlrev_b32_e32 v2, 4, v12
	s_waitcnt lgkmcnt(0)
	s_barrier
	global_load_dwordx4 v[4:7], v2, s[14:15]
	s_movk_i32 s16, 0xff70
	v_lshrrev_b32_e32 v2, 1, v80
	v_lshrrev_b32_e32 v3, 1, v15
	;; [unrolled: 1-line block ×4, first 2 shown]
	v_mul_u32_u24_e32 v19, 6, v2
	v_mul_lo_u32 v20, v3, 6
	v_mul_lo_u32 v13, v13, 6
	;; [unrolled: 1-line block ×3, first 2 shown]
	v_mad_i32_i24 v2, v80, s16, v30
	v_mad_i32_i24 v11, v35, s16, v11
	s_movk_i32 s17, 0x90
	v_mad_i32_i24 v3, v15, s16, v8
	v_mad_i32_i24 v48, v1, s16, v9
	;; [unrolled: 1-line block ×3, first 2 shown]
	v_or_b32_e32 v8, v19, v12
	v_or_b32_e32 v9, v20, v12
	;; [unrolled: 1-line block ×4, first 2 shown]
	ds_read_b64 v[12:13], v11
	v_add_u32_e32 v11, 0x3720, v2
	v_add_u32_e32 v19, 0x2760, v2
	;; [unrolled: 1-line block ×3, first 2 shown]
	v_mul_u32_u24_e32 v30, 0x90, v8
	v_mul_lo_u32 v31, v9, s17
	v_mul_lo_u32 v32, v10, s17
	;; [unrolled: 1-line block ×3, first 2 shown]
	ds_read_b64 v[26:27], v49
	ds_read_b64 v[28:29], v48
	ds_read2_b64 v[8:11], v11 offset1:252
	ds_read2_b64 v[18:21], v19 offset1:252
	;; [unrolled: 1-line block ×3, first 2 shown]
	v_add3_u32 v46, 0, v30, v47
	v_add3_u32 v50, 0, v31, v47
	;; [unrolled: 1-line block ×4, first 2 shown]
	s_mov_b32 s16, 0x3f5db3d7
	s_waitcnt vmcnt(0) lgkmcnt(2)
	v_pk_mul_f32 v[30:31], v[4:5], v[8:9] op_sel:[0,1]
	s_nop 0
	v_pk_fma_f32 v[38:39], v[4:5], v[8:9], v[30:31] op_sel:[0,0,1] op_sel_hi:[1,1,0] neg_lo:[0,0,1] neg_hi:[0,0,1]
	v_pk_fma_f32 v[8:9], v[4:5], v[8:9], v[30:31] op_sel:[0,0,1] op_sel_hi:[1,0,0]
	v_mov_b32_e32 v36, v7
	v_mov_b32_e32 v39, v9
	ds_read_b64 v[8:9], v2 offset:22176
	s_waitcnt lgkmcnt(1)
	v_pk_mul_f32 v[32:33], v[6:7], v[24:25] op_sel:[0,1]
	v_pk_mul_f32 v[34:35], v[4:5], v[20:21] op_sel:[0,1]
	v_pk_fma_f32 v[30:31], v[6:7], v[24:25], v[32:33] op_sel:[0,0,1] op_sel_hi:[1,1,0] neg_lo:[0,0,1] neg_hi:[0,0,1]
	v_pk_fma_f32 v[24:25], v[6:7], v[24:25], v[32:33] op_sel:[0,0,1] op_sel_hi:[1,0,0]
	s_waitcnt lgkmcnt(0)
	v_pk_mul_f32 v[36:37], v[8:9], v[36:37] op_sel_hi:[1,0]
	v_pk_fma_f32 v[32:33], v[4:5], v[20:21], v[34:35] op_sel:[0,0,1] op_sel_hi:[1,1,0] neg_lo:[0,0,1] neg_hi:[0,0,1]
	v_pk_fma_f32 v[40:41], v[8:9], v[6:7], v[36:37] op_sel:[0,0,1] op_sel_hi:[1,1,0] neg_lo:[0,0,1] neg_hi:[0,0,1]
	v_pk_fma_f32 v[8:9], v[8:9], v[6:7], v[36:37] op_sel:[0,0,1] op_sel_hi:[1,0,0]
	v_pk_mul_f32 v[36:37], v[4:5], v[18:19] op_sel:[0,1]
	v_pk_fma_f32 v[20:21], v[4:5], v[20:21], v[34:35] op_sel:[0,0,1] op_sel_hi:[1,0,0]
	v_mov_b32_e32 v31, v25
	ds_read_b64 v[24:25], v3
	ds_read_b64 v[34:35], v2
	v_pk_fma_f32 v[42:43], v[4:5], v[18:19], v[36:37] op_sel:[0,0,1] op_sel_hi:[1,1,0] neg_lo:[0,0,1] neg_hi:[0,0,1]
	v_pk_fma_f32 v[18:19], v[4:5], v[18:19], v[36:37] op_sel:[0,0,1] op_sel_hi:[1,0,0]
	v_pk_mul_f32 v[36:37], v[6:7], v[22:23] op_sel:[0,1]
	v_mov_b32_e32 v43, v19
	v_pk_fma_f32 v[44:45], v[6:7], v[22:23], v[36:37] op_sel:[0,0,1] op_sel_hi:[1,1,0] neg_lo:[0,0,1] neg_hi:[0,0,1]
	v_pk_fma_f32 v[22:23], v[6:7], v[22:23], v[36:37] op_sel:[0,0,1] op_sel_hi:[1,0,0]
	s_waitcnt lgkmcnt(1)
	v_pk_add_f32 v[18:19], v[24:25], v[42:43]
	v_mov_b32_e32 v45, v23
	v_pk_add_f32 v[22:23], v[42:43], v[44:45]
	v_mov_b32_e32 v33, v21
	v_pk_fma_f32 v[22:23], v[22:23], 0.5, v[24:25] op_sel_hi:[1,0,1] neg_lo:[1,0,0] neg_hi:[1,0,0]
	v_pk_add_f32 v[24:25], v[42:43], v[44:45] neg_lo:[0,1] neg_hi:[0,1]
	v_pk_add_f32 v[18:19], v[18:19], v[44:45]
	v_pk_mul_f32 v[24:25], v[24:25], s[16:17] op_sel_hi:[1,0]
	s_waitcnt lgkmcnt(0)
	v_pk_add_f32 v[36:37], v[22:23], v[24:25] op_sel:[0,1] op_sel_hi:[1,0]
	v_pk_add_f32 v[22:23], v[22:23], v[24:25] op_sel:[0,1] op_sel_hi:[1,0] neg_lo:[0,1] neg_hi:[0,1]
	v_pk_mul_f32 v[24:25], v[4:5], v[12:13] op_sel:[0,1]
	s_barrier
	v_pk_fma_f32 v[42:43], v[4:5], v[12:13], v[24:25] op_sel:[0,0,1] op_sel_hi:[1,1,0] neg_lo:[0,0,1] neg_hi:[0,0,1]
	v_pk_fma_f32 v[4:5], v[4:5], v[12:13], v[24:25] op_sel:[0,0,1] op_sel_hi:[1,0,0]
	v_pk_mul_f32 v[12:13], v[6:7], v[10:11] op_sel:[0,1]
	v_mov_b32_e32 v43, v5
	v_pk_fma_f32 v[24:25], v[6:7], v[10:11], v[12:13] op_sel:[0,0,1] op_sel_hi:[1,1,0] neg_lo:[0,0,1] neg_hi:[0,0,1]
	v_pk_fma_f32 v[6:7], v[6:7], v[10:11], v[12:13] op_sel:[0,0,1] op_sel_hi:[1,0,0]
	v_pk_add_f32 v[4:5], v[34:35], v[42:43]
	v_mov_b32_e32 v25, v7
	v_pk_add_f32 v[6:7], v[42:43], v[24:25]
	v_pk_add_f32 v[10:11], v[42:43], v[24:25] neg_lo:[0,1] neg_hi:[0,1]
	v_pk_fma_f32 v[6:7], v[6:7], 0.5, v[34:35] op_sel_hi:[1,0,1] neg_lo:[1,0,0] neg_hi:[1,0,0]
	v_pk_mul_f32 v[10:11], v[10:11], s[16:17] op_sel_hi:[1,0]
	v_pk_add_f32 v[4:5], v[4:5], v[24:25]
	v_pk_add_f32 v[12:13], v[6:7], v[10:11] op_sel:[0,1] op_sel_hi:[1,0]
	v_pk_add_f32 v[6:7], v[6:7], v[10:11] op_sel:[0,1] op_sel_hi:[1,0] neg_lo:[0,1] neg_hi:[0,1]
	v_mov_b32_e32 v10, v12
	v_mov_b32_e32 v11, v7
	ds_write2_b64 v46, v[4:5], v[10:11] offset1:36
	v_mov_b32_e32 v7, v13
	v_mov_b32_e32 v4, v36
	v_mov_b32_e32 v5, v23
	ds_write_b64 v46, v[6:7] offset:576
	ds_write2_b64 v50, v[18:19], v[4:5] offset1:36
	v_pk_add_f32 v[4:5], v[32:33], v[30:31]
	v_pk_add_f32 v[6:7], v[32:33], v[30:31] neg_lo:[0,1] neg_hi:[0,1]
	v_pk_fma_f32 v[4:5], v[4:5], 0.5, v[28:29] op_sel_hi:[1,0,1] neg_lo:[1,0,0] neg_hi:[1,0,0]
	v_pk_mul_f32 v[6:7], v[6:7], s[16:17] op_sel_hi:[1,0]
	v_mov_b32_e32 v41, v9
	v_pk_add_f32 v[8:9], v[28:29], v[32:33]
	v_pk_add_f32 v[10:11], v[4:5], v[6:7] op_sel:[0,1] op_sel_hi:[1,0]
	v_pk_add_f32 v[4:5], v[4:5], v[6:7] op_sel:[0,1] op_sel_hi:[1,0] neg_lo:[0,1] neg_hi:[0,1]
	v_pk_add_f32 v[8:9], v[8:9], v[30:31]
	v_mov_b32_e32 v23, v37
	v_mov_b32_e32 v6, v10
	;; [unrolled: 1-line block ×4, first 2 shown]
	ds_write_b64 v50, v[22:23] offset:576
	ds_write2_b64 v51, v[8:9], v[6:7] offset1:36
	ds_write_b64 v51, v[4:5] offset:576
	v_pk_add_f32 v[4:5], v[38:39], v[40:41]
	v_pk_add_f32 v[6:7], v[38:39], v[40:41] neg_lo:[0,1] neg_hi:[0,1]
	v_pk_fma_f32 v[4:5], v[4:5], 0.5, v[26:27] op_sel_hi:[1,0,1] neg_lo:[1,0,0] neg_hi:[1,0,0]
	v_pk_mul_f32 v[6:7], v[6:7], s[16:17] op_sel_hi:[1,0]
	s_movk_i32 s16, 0xab
	v_pk_add_f32 v[8:9], v[4:5], v[6:7] op_sel:[0,1] op_sel_hi:[1,0]
	v_pk_add_f32 v[4:5], v[4:5], v[6:7] op_sel:[0,1] op_sel_hi:[1,0] neg_lo:[0,1] neg_hi:[0,1]
	v_mov_b32_e32 v18, 3
	v_mov_b32_e32 v7, v5
	v_mov_b32_e32 v5, v9
	ds_write_b64 v52, v[4:5] offset:576
	v_mul_lo_u16_sdwa v4, v1, s16 dst_sel:DWORD dst_unused:UNUSED_PAD src0_sel:BYTE_0 src1_sel:DWORD
	v_lshrrev_b16_e32 v45, 10, v4
	v_mul_lo_u16_e32 v4, 6, v45
	v_sub_u16_e32 v1, v1, v4
	v_pk_add_f32 v[20:21], v[26:27], v[38:39]
	v_mul_u32_u24_sdwa v4, v1, v18 dst_sel:DWORD dst_unused:UNUSED_PAD src0_sel:BYTE_0 src1_sel:DWORD
	v_pk_add_f32 v[20:21], v[20:21], v[40:41]
	v_mov_b32_e32 v6, v8
	v_lshlrev_b32_e32 v8, 3, v4
	ds_write2_b64 v52, v[20:21], v[6:7] offset1:36
	s_waitcnt lgkmcnt(0)
	s_barrier
	global_load_dwordx4 v[4:7], v8, s[14:15] offset:32
	global_load_dwordx2 v[12:13], v8, s[14:15] offset:48
	v_mul_lo_u16_sdwa v8, v15, s16 dst_sel:DWORD dst_unused:UNUSED_PAD src0_sel:BYTE_0 src1_sel:DWORD
	v_lshrrev_b16_e32 v50, 10, v8
	v_mul_lo_u16_e32 v8, 6, v50
	v_sub_u16_e32 v51, v15, v8
	v_mul_u32_u24_sdwa v8, v51, v18 dst_sel:DWORD dst_unused:UNUSED_PAD src0_sel:BYTE_0 src1_sel:DWORD
	v_lshlrev_b32_e32 v19, 3, v8
	global_load_dwordx4 v[8:11], v19, s[14:15] offset:32
	global_load_dwordx2 v[26:27], v19, s[14:15] offset:48
	v_mul_lo_u16_e32 v52, 43, v80
	v_mov_b32_e32 v19, 6
	v_mul_lo_u16_sdwa v19, v52, v19 dst_sel:DWORD dst_unused:UNUSED_PAD src0_sel:BYTE_1 src1_sel:DWORD
	v_sub_u16_e32 v53, v80, v19
	v_mul_u32_u24_sdwa v18, v53, v18 dst_sel:DWORD dst_unused:UNUSED_PAD src0_sel:BYTE_0 src1_sel:DWORD
	v_lshlrev_b32_e32 v18, 3, v18
	global_load_dwordx4 v[22:25], v18, s[14:15] offset:32
	global_load_dwordx2 v[40:41], v18, s[14:15] offset:48
	v_add_u32_e32 v18, 0x2f40, v2
	ds_read2_b64 v[28:31], v18 offset1:252
	v_add_u32_e32 v32, 0x3f00, v2
	v_add_u32_e32 v18, 0x1f80, v2
	ds_read2_b64 v[18:21], v18 offset1:252
	ds_read2_b64 v[32:35], v32 offset1:252
	v_add_u32_e32 v36, 0x4ec0, v2
	ds_read2_b64 v[36:39], v36 offset1:252
	s_movk_i32 s16, 0xb3
	v_cmp_lt_u32_e32 vcc, s16, v0
	s_waitcnt lgkmcnt(1)
	v_mov_b32_e32 v44, v33
	s_waitcnt vmcnt(5)
	v_mov_b32_e32 v42, v5
	v_pk_mul_f32 v[42:43], v[20:21], v[42:43] op_sel:[1,0] op_sel_hi:[0,1]
	v_pk_fma_f32 v[42:43], v[20:21], v[4:5], v[42:43] neg_lo:[0,0,1] neg_hi:[0,0,1]
	v_pk_mul_f32 v[4:5], v[20:21], v[4:5] op_sel:[1,0] op_sel_hi:[0,1]
	v_pk_mul_f32 v[20:21], v[32:33], v[6:7]
	v_mov_b32_e32 v46, v7
	v_mov_b32_e32 v20, v21
	v_pk_fma_f32 v[20:21], v[32:33], v[6:7], v[20:21] neg_lo:[0,0,1] neg_hi:[0,0,1]
	v_pk_mul_f32 v[32:33], v[32:33], v[46:47]
	s_nop 0
	v_pk_fma_f32 v[6:7], v[44:45], v[6:7], v[32:33]
	s_waitcnt vmcnt(4)
	v_mov_b32_e32 v32, v13
	s_waitcnt lgkmcnt(0)
	v_pk_mul_f32 v[32:33], v[38:39], v[32:33] op_sel:[1,0] op_sel_hi:[0,1]
	v_pk_fma_f32 v[32:33], v[38:39], v[12:13], v[32:33] neg_lo:[0,0,1] neg_hi:[0,0,1]
	v_pk_mul_f32 v[12:13], v[38:39], v[12:13] op_sel:[1,0] op_sel_hi:[0,1]
	v_mov_b32_e32 v38, v4
	v_mov_b32_e32 v39, v12
	;; [unrolled: 1-line block ×3, first 2 shown]
	v_pk_add_f32 v[4:5], v[38:39], v[12:13]
	s_waitcnt vmcnt(3)
	v_pk_mul_f32 v[12:13], v[8:9], v[18:19] op_sel:[0,1]
	v_mov_b32_e32 v43, v4
	v_pk_fma_f32 v[38:39], v[8:9], v[18:19], v[12:13] op_sel:[1,0,0] op_sel_hi:[0,1,1]
	v_pk_fma_f32 v[8:9], v[8:9], v[18:19], v[12:13] op_sel:[1,0,0] op_sel_hi:[0,0,1] neg_lo:[0,0,1] neg_hi:[0,0,1]
	v_mov_b32_e32 v39, v9
	v_mov_b32_e32 v8, v11
	;; [unrolled: 1-line block ×3, first 2 shown]
	v_pk_mul_f32 v[8:9], v[8:9], v[30:31] op_sel:[0,1]
	v_mov_b32_e32 v33, v5
	v_pk_fma_f32 v[12:13], v[10:11], v[30:31], v[8:9] neg_lo:[0,0,1] neg_hi:[0,0,1]
	v_pk_fma_f32 v[8:9], v[10:11], v[30:31], v[8:9] op_sel_hi:[1,0,1]
	ds_read_b64 v[10:11], v3
	v_mov_b32_e32 v13, v9
	s_waitcnt vmcnt(2)
	v_pk_mul_f32 v[8:9], v[36:37], v[26:27] op_sel:[0,1]
	v_pk_add_f32 v[4:5], v[42:43], v[32:33] neg_lo:[0,1] neg_hi:[0,1]
	v_pk_fma_f32 v[18:19], v[36:37], v[26:27], v[8:9] op_sel:[1,0,0] op_sel_hi:[0,1,1]
	v_pk_fma_f32 v[8:9], v[36:37], v[26:27], v[8:9] op_sel:[1,0,0] op_sel_hi:[0,0,1] neg_lo:[0,0,1] neg_hi:[0,0,1]
	v_mov_b32_e32 v19, v9
	ds_read_b64 v[8:9], v2
	s_waitcnt lgkmcnt(1)
	v_pk_add_f32 v[12:13], v[10:11], v[12:13] neg_lo:[0,1] neg_hi:[0,1]
	v_pk_add_f32 v[30:31], v[38:39], v[18:19] neg_lo:[0,1] neg_hi:[0,1]
	v_mov_b32_e32 v7, 24
	v_pk_add_f32 v[18:19], v[12:13], v[30:31] neg_lo:[0,1] neg_hi:[0,1]
	v_pk_add_f32 v[26:27], v[12:13], v[30:31]
	v_pk_fma_f32 v[30:31], v[38:39], 2.0, v[30:31] op_sel_hi:[1,0,1] neg_lo:[0,0,1] neg_hi:[0,0,1]
	v_mov_b32_e32 v19, v27
	ds_read_b64 v[36:37], v49
	ds_read_b64 v[26:27], v48
	v_mul_u32_u24_sdwa v7, v52, v7 dst_sel:DWORD dst_unused:UNUSED_PAD src0_sel:BYTE_1 src1_sel:DWORD
	v_or_b32_sdwa v7, v7, v53 dst_sel:DWORD dst_unused:UNUSED_PAD src0_sel:DWORD src1_sel:BYTE_0
	v_mul_u32_u24_e32 v7, 0x90, v7
	s_waitcnt vmcnt(1) lgkmcnt(1)
	v_pk_mul_f32 v[32:33], v[22:23], v[36:37] op_sel:[0,1]
	v_add3_u32 v44, 0, v7, v47
	v_pk_fma_f32 v[38:39], v[22:23], v[36:37], v[32:33] op_sel:[0,0,1] op_sel_hi:[1,1,0] neg_lo:[0,0,1] neg_hi:[0,0,1]
	v_pk_fma_f32 v[22:23], v[22:23], v[36:37], v[32:33] op_sel:[0,0,1] op_sel_hi:[1,0,0]
	v_mul_u32_u24_e32 v7, 24, v50
	v_mov_b32_e32 v39, v23
	v_pk_mul_f32 v[22:23], v[24:25], v[28:29] op_sel:[0,1]
	v_or_b32_sdwa v7, v7, v51 dst_sel:DWORD dst_unused:UNUSED_PAD src0_sel:DWORD src1_sel:BYTE_0
	v_pk_fma_f32 v[32:33], v[24:25], v[28:29], v[22:23] op_sel:[0,0,1] op_sel_hi:[1,1,0] neg_lo:[0,0,1] neg_hi:[0,0,1]
	v_pk_fma_f32 v[22:23], v[24:25], v[28:29], v[22:23] op_sel:[0,0,1] op_sel_hi:[1,0,0]
	v_mul_u32_u24_e32 v7, 0x90, v7
	v_mov_b32_e32 v33, v23
	s_waitcnt vmcnt(0)
	v_pk_mul_f32 v[22:23], v[40:41], v[34:35] op_sel:[0,1]
	v_add3_u32 v46, 0, v7, v47
	v_pk_fma_f32 v[24:25], v[40:41], v[34:35], v[22:23] op_sel:[0,0,1] op_sel_hi:[1,1,0] neg_lo:[0,0,1] neg_hi:[0,0,1]
	v_pk_fma_f32 v[22:23], v[40:41], v[34:35], v[22:23] op_sel:[0,0,1] op_sel_hi:[1,0,0]
	v_mul_u32_u24_e32 v7, 24, v45
	v_mov_b32_e32 v25, v23
	v_pk_add_f32 v[22:23], v[8:9], v[32:33] neg_lo:[0,1] neg_hi:[0,1]
	v_pk_add_f32 v[24:25], v[38:39], v[24:25] neg_lo:[0,1] neg_hi:[0,1]
	v_pk_fma_f32 v[8:9], v[8:9], 2.0, v[22:23] op_sel_hi:[1,0,1] neg_lo:[0,0,1] neg_hi:[0,0,1]
	v_pk_fma_f32 v[28:29], v[38:39], 2.0, v[24:25] op_sel_hi:[1,0,1] neg_lo:[0,0,1] neg_hi:[0,0,1]
	v_pk_add_f32 v[32:33], v[22:23], v[24:25] op_sel:[0,1] op_sel_hi:[1,0] neg_lo:[0,1] neg_hi:[0,1]
	v_pk_add_f32 v[24:25], v[22:23], v[24:25] op_sel:[0,1] op_sel_hi:[1,0]
	v_mov_b32_e32 v21, v6
	v_pk_add_f32 v[28:29], v[8:9], v[28:29] neg_lo:[0,1] neg_hi:[0,1]
	v_mov_b32_e32 v33, v25
	v_or_b32_sdwa v1, v7, v1 dst_sel:DWORD dst_unused:UNUSED_PAD src0_sel:DWORD src1_sel:BYTE_0
	s_waitcnt lgkmcnt(0)
	v_pk_add_f32 v[6:7], v[26:27], v[20:21] neg_lo:[0,1] neg_hi:[0,1]
	v_pk_fma_f32 v[10:11], v[10:11], 2.0, v[12:13] op_sel_hi:[1,0,1] neg_lo:[0,0,1] neg_hi:[0,0,1]
	v_pk_fma_f32 v[8:9], v[8:9], 2.0, v[28:29] op_sel_hi:[1,0,1] neg_lo:[0,0,1] neg_hi:[0,0,1]
	;; [unrolled: 1-line block ×5, first 2 shown]
	v_pk_add_f32 v[30:31], v[10:11], v[30:31] op_sel:[0,1] op_sel_hi:[1,0] neg_lo:[0,1] neg_hi:[0,1]
	s_barrier
	ds_write2_b64 v44, v[8:9], v[22:23] offset1:108
	v_add_u32_e32 v8, 0x400, v44
	v_pk_add_f32 v[22:23], v[6:7], v[4:5] op_sel:[0,1] op_sel_hi:[1,0] neg_lo:[0,1] neg_hi:[0,1]
	v_pk_add_f32 v[4:5], v[6:7], v[4:5] op_sel:[0,1] op_sel_hi:[1,0]
	v_mul_u32_u24_e32 v1, 0x90, v1
	v_pk_add_f32 v[20:21], v[26:27], v[20:21] neg_lo:[0,1] neg_hi:[0,1]
	v_pk_fma_f32 v[10:11], v[10:11], 2.0, v[30:31] op_sel_hi:[1,0,1] neg_lo:[0,0,1] neg_hi:[0,0,1]
	ds_write2_b64 v8, v[28:29], v[32:33] offset0:88 offset1:196
	v_pk_fma_f32 v[8:9], v[12:13], 2.0, v[18:19] op_sel_hi:[1,0,1] neg_lo:[0,0,1] neg_hi:[0,0,1]
	v_mov_b32_e32 v23, v5
	v_add3_u32 v1, 0, v1, v47
	v_pk_fma_f32 v[26:27], v[26:27], 2.0, v[20:21] op_sel_hi:[1,0,1] neg_lo:[0,0,1] neg_hi:[0,0,1]
	ds_write2_b64 v46, v[10:11], v[8:9] offset1:108
	v_add_u32_e32 v8, 0x400, v46
	v_pk_fma_f32 v[24:25], v[6:7], 2.0, v[22:23] op_sel_hi:[1,0,1] neg_lo:[0,0,1] neg_hi:[0,0,1]
	ds_write2_b64 v8, v[30:31], v[18:19] offset0:88 offset1:196
	ds_write2_b64 v1, v[26:27], v[24:25] offset1:108
	v_add_u32_e32 v1, 0x400, v1
	ds_write2_b64 v1, v[20:21], v[22:23] offset0:88 offset1:196
	s_waitcnt lgkmcnt(0)
	s_barrier
	ds_read_b64 v[6:7], v2
	ds_read_b64 v[34:35], v2 offset:3456
	ds_read_b64 v[38:39], v2 offset:6912
	;; [unrolled: 1-line block ×6, first 2 shown]
                                        ; implicit-def: $vgpr32
                                        ; implicit-def: $vgpr28_vgpr29
	s_and_saveexec_b64 s[16:17], vcc
	s_xor_b64 s[16:17], exec, s[16:17]
; %bb.11:
	v_mov_b32_e32 v32, v22
	v_mov_b64_e32 v[28:29], v[22:23]
                                        ; implicit-def: $vgpr3
                                        ; implicit-def: $vgpr2
; %bb.12:
	s_or_saveexec_b64 s[16:17], s[16:17]
	s_movk_i32 s19, 0xb4
                                        ; implicit-def: $vgpr30
	s_xor_b64 exec, exec, s[16:17]
	s_cbranch_execz .LBB0_14
; %bb.13:
	v_add_u32_e32 v1, 0x2000, v2
	ds_read_b64 v[30:31], v2 offset:19296
	ds_read_b64 v[32:33], v2 offset:22752
	ds_read_b64 v[18:19], v3
	ds_read_b64 v[26:27], v2 offset:5472
	ds_read_b64 v[20:21], v2 offset:12384
	;; [unrolled: 1-line block ×3, first 2 shown]
	ds_read2_b32 v[24:25], v1 offset0:184 offset1:185
	s_waitcnt lgkmcnt(5)
	v_mov_b32_e32 v28, v32
	s_waitcnt lgkmcnt(1)
	v_mov_b32_e32 v29, v23
.LBB0_14:
	s_or_b64 exec, exec, s[16:17]
	s_load_dwordx2 s[0:1], s[0:1], 0x8
	v_and_b32_e32 v23, 0xffff, v80
	v_mul_lo_u32 v2, v16, v23
	v_mov_b32_e32 v1, 3
	v_add_u32_e32 v81, 24, v23
	v_lshlrev_b32_sdwa v40, v1, v2 dst_sel:DWORD dst_unused:UNUSED_PAD src0_sel:DWORD src1_sel:BYTE_0
	v_lshlrev_b32_sdwa v41, v1, v2 dst_sel:DWORD dst_unused:UNUSED_PAD src0_sel:DWORD src1_sel:BYTE_1
	v_mul_lo_u32 v2, v16, v81
	v_or_b32_e32 v82, 48, v23
	v_lshlrev_b32_sdwa v42, v1, v2 dst_sel:DWORD dst_unused:UNUSED_PAD src0_sel:DWORD src1_sel:BYTE_0
	v_lshlrev_b32_sdwa v43, v1, v2 dst_sel:DWORD dst_unused:UNUSED_PAD src0_sel:DWORD src1_sel:BYTE_1
	s_waitcnt lgkmcnt(0)
	global_load_dwordx2 v[2:3], v40, s[0:1]
	global_load_dwordx2 v[44:45], v41, s[0:1] offset:2048
	global_load_dwordx2 v[4:5], v42, s[0:1]
	global_load_dwordx2 v[46:47], v43, s[0:1] offset:2048
	v_mul_lo_u32 v40, v16, v82
	v_lshlrev_b32_sdwa v41, v1, v40 dst_sel:DWORD dst_unused:UNUSED_PAD src0_sel:DWORD src1_sel:BYTE_0
	v_lshlrev_b32_sdwa v40, v1, v40 dst_sel:DWORD dst_unused:UNUSED_PAD src0_sel:DWORD src1_sel:BYTE_1
	v_add_u32_e32 v83, 0x48, v23
	v_or_b32_e32 v84, 0x60, v23
	global_load_dwordx2 v[48:49], v41, s[0:1]
	global_load_dwordx2 v[50:51], v40, s[0:1] offset:2048
	v_mul_lo_u32 v40, v16, v83
	v_mul_lo_u32 v42, v16, v84
	v_lshlrev_b32_sdwa v41, v1, v40 dst_sel:DWORD dst_unused:UNUSED_PAD src0_sel:DWORD src1_sel:BYTE_0
	v_lshlrev_b32_sdwa v40, v1, v40 dst_sel:DWORD dst_unused:UNUSED_PAD src0_sel:DWORD src1_sel:BYTE_1
	v_lshlrev_b32_sdwa v43, v1, v42 dst_sel:DWORD dst_unused:UNUSED_PAD src0_sel:DWORD src1_sel:BYTE_0
	v_add_u32_e32 v85, 0x78, v23
	v_lshlrev_b32_sdwa v42, v1, v42 dst_sel:DWORD dst_unused:UNUSED_PAD src0_sel:DWORD src1_sel:BYTE_1
	global_load_dwordx2 v[56:57], v43, s[0:1]
	global_load_dwordx2 v[58:59], v42, s[0:1] offset:2048
	global_load_dwordx2 v[52:53], v40, s[0:1] offset:2048
	global_load_dwordx2 v[54:55], v41, s[0:1]
	v_mul_lo_u32 v40, v16, v85
	v_lshlrev_b32_sdwa v41, v1, v40 dst_sel:DWORD dst_unused:UNUSED_PAD src0_sel:DWORD src1_sel:BYTE_1
	v_lshlrev_b32_sdwa v40, v1, v40 dst_sel:DWORD dst_unused:UNUSED_PAD src0_sel:DWORD src1_sel:BYTE_0
	v_or_b32_e32 v86, 0x90, v23
	global_load_dwordx2 v[60:61], v41, s[0:1] offset:2048
	global_load_dwordx2 v[62:63], v40, s[0:1]
	v_mul_lo_u32 v40, v16, v86
	s_movk_i32 s16, 0xab
	v_lshlrev_b32_sdwa v41, v1, v40 dst_sel:DWORD dst_unused:UNUSED_PAD src0_sel:DWORD src1_sel:BYTE_1
	v_lshlrev_b32_sdwa v66, v1, v40 dst_sel:DWORD dst_unused:UNUSED_PAD src0_sel:DWORD src1_sel:BYTE_0
	v_mul_lo_u16_sdwa v40, v15, s16 dst_sel:DWORD dst_unused:UNUSED_PAD src0_sel:BYTE_0 src1_sel:DWORD
	v_lshrrev_b16_e32 v40, 12, v40
	v_mul_lo_u16_e32 v40, 24, v40
	v_sub_u16_e32 v40, v15, v40
	v_and_b32_e32 v87, 0xff, v40
	v_mul_lo_u32 v40, v16, v87
	v_lshlrev_b32_sdwa v67, v1, v40 dst_sel:DWORD dst_unused:UNUSED_PAD src0_sel:DWORD src1_sel:BYTE_0
	global_load_dwordx2 v[64:65], v41, s[0:1] offset:2048
	v_lshlrev_b32_sdwa v68, v1, v40 dst_sel:DWORD dst_unused:UNUSED_PAD src0_sel:DWORD src1_sel:BYTE_1
	global_load_dwordx2 v[40:41], v67, s[0:1]
	global_load_dwordx2 v[42:43], v68, s[0:1] offset:2048
	global_load_dwordx2 v[78:79], v66, s[0:1]
	v_mul_u32_u24_e32 v66, 6, v23
	v_lshlrev_b32_e32 v88, 3, v66
	global_load_dwordx4 v[66:69], v88, s[14:15] offset:176
	global_load_dwordx4 v[70:73], v88, s[14:15] offset:208
	;; [unrolled: 1-line block ×3, first 2 shown]
	s_mov_b32 s16, 0xbf955555
	s_mov_b32 s22, 0x3eae86e6
	;; [unrolled: 1-line block ×6, first 2 shown]
	s_andn2_b64 vcc, exec, s[2:3]
	s_waitcnt vmcnt(17)
	v_mul_f32_e32 v89, v3, v45
	v_mul_f32_e32 v94, v2, v45
	s_waitcnt vmcnt(15)
	v_mul_f32_e32 v45, v5, v47
	v_fma_f32 v89, v2, v44, -v89
	v_mul_f32_e32 v106, v4, v47
	v_fmac_f32_e32 v94, v3, v44
	v_fma_f32 v109, v4, v46, -v45
	v_fmac_f32_e32 v106, v5, v46
	s_waitcnt vmcnt(13)
	v_mul_f32_e32 v47, v49, v51
	v_mul_f32_e32 v107, v48, v51
	v_fma_f32 v110, v48, v50, -v47
	v_fmac_f32_e32 v107, v49, v50
	s_waitcnt vmcnt(11)
	v_mul_f32_e32 v51, v57, v59
	s_waitcnt vmcnt(10)
	v_mov_b32_e32 v88, v53
	s_waitcnt vmcnt(9)
	v_pk_mul_f32 v[90:91], v[54:55], v[52:53] op_sel:[1,0] op_sel_hi:[0,1]
	v_mul_f32_e32 v108, v56, v59
	v_pk_mul_f32 v[2:3], v[54:55], v[88:89] op_sel:[1,0] op_sel_hi:[0,1]
	v_mov_b32_e32 v4, v91
	s_waitcnt vmcnt(8)
	v_mov_b32_e32 v90, v61
	s_waitcnt vmcnt(7)
	v_pk_mul_f32 v[92:93], v[62:63], v[60:61] op_sel:[1,0] op_sel_hi:[0,1]
	v_fma_f32 v111, v56, v58, -v51
	v_fmac_f32_e32 v108, v57, v58
	v_pk_mul_f32 v[44:45], v[62:63], v[90:91] op_sel:[1,0] op_sel_hi:[0,1]
	v_mov_b32_e32 v48, v93
	v_pk_fma_f32 v[56:57], v[54:55], v[52:53], v[2:3] neg_lo:[0,0,1] neg_hi:[0,0,1]
	v_pk_fma_f32 v[52:53], v[54:55], v[52:53], v[4:5] op_sel:[1,0,0] op_sel_hi:[0,1,1]
	v_mov_b32_e32 v54, v39
	v_mov_b32_e32 v55, v13
	v_pk_fma_f32 v[46:47], v[62:63], v[60:61], v[44:45] neg_lo:[0,0,1] neg_hi:[0,0,1]
	v_pk_fma_f32 v[50:51], v[62:63], v[60:61], v[48:49] op_sel:[1,0,0] op_sel_hi:[0,1,1]
	s_waitcnt vmcnt(6)
	v_mov_b32_e32 v92, v65
	s_waitcnt vmcnt(3)
	v_pk_mul_f32 v[2:3], v[78:79], v[64:65] op_sel:[1,0] op_sel_hi:[0,1]
	s_waitcnt vmcnt(2)
	v_mov_b32_e32 v58, v69
	s_waitcnt vmcnt(1)
	v_mov_b32_e32 v59, v71
	v_pk_mul_f32 v[54:55], v[58:59], v[54:55]
	v_mov_b32_e32 v58, v38
	v_mov_b32_e32 v59, v12
	;; [unrolled: 1-line block ×4, first 2 shown]
	v_pk_mul_f32 v[4:5], v[78:79], v[92:93] op_sel:[1,0] op_sel_hi:[0,1]
	v_mov_b32_e32 v2, v3
	v_pk_fma_f32 v[54:55], v[60:61], v[58:59], v[54:55] neg_lo:[0,0,1] neg_hi:[0,0,1]
	v_mov_b32_e32 v58, v69
	s_waitcnt vmcnt(0)
	v_mov_b32_e32 v59, v74
	v_mov_b32_e32 v60, v38
	;; [unrolled: 1-line block ×3, first 2 shown]
	v_pk_fma_f32 v[44:45], v[78:79], v[64:65], v[4:5] neg_lo:[0,0,1] neg_hi:[0,0,1]
	v_pk_fma_f32 v[48:49], v[78:79], v[64:65], v[2:3] op_sel:[1,0,0] op_sel_hi:[0,1,1]
	v_pk_mul_f32 v[58:59], v[58:59], v[60:61]
	v_mov_b32_e32 v65, v68
	v_mov_b32_e32 v64, v75
	;; [unrolled: 1-line block ×3, first 2 shown]
	v_pk_fma_f32 v[38:39], v[64:65], v[38:39], v[58:59] op_sel:[0,0,1] op_sel_hi:[1,1,0]
	v_mul_f32_e32 v60, v67, v34
	v_mov_b32_e32 v63, v74
	v_mov_b32_e32 v74, v67
	v_mov_b32_e32 v38, v75
	v_mov_b32_e32 v64, v35
	v_mov_b32_e32 v65, v36
	v_fmac_f32_e32 v60, v66, v35
	v_mov_b32_e32 v62, v66
	v_pk_fma_f32 v[58:59], v[38:39], v[36:37], v[58:59] op_sel:[0,1,1] op_sel_hi:[1,1,0] neg_lo:[1,0,0] neg_hi:[1,0,0]
	v_mov_b32_e32 v36, v34
	v_pk_mul_f32 v[34:35], v[74:75], v[64:65]
	v_mov_b32_e32 v67, v76
	v_pk_fma_f32 v[64:65], v[62:63], v[36:37], v[34:35] neg_lo:[0,0,1] neg_hi:[0,0,1]
	v_pk_fma_f32 v[34:35], v[62:63], v[36:37], v[34:35]
	v_mov_b32_e32 v37, v70
	v_mov_b32_e32 v63, v13
	;; [unrolled: 1-line block ×7, first 2 shown]
	v_pk_mul_f32 v[12:13], v[70:71], v[12:13]
	v_mov_b32_e32 v66, v72
	v_pk_fma_f32 v[36:37], v[36:37], v[62:63], v[12:13]
	v_mov_b32_e32 v62, v11
	v_mov_b32_e32 v63, v8
	v_pk_fma_f32 v[12:13], v[76:77], v[8:9], v[12:13] op_sel_hi:[1,0,1] neg_lo:[0,0,1] neg_hi:[0,0,1]
	v_mov_b32_e32 v76, v73
	v_mul_f32_e32 v8, v73, v10
	v_pk_mul_f32 v[62:63], v[76:77], v[62:63]
	v_fmac_f32_e32 v8, v72, v11
	v_mov_b32_e32 v11, v9
	v_pk_fma_f32 v[68:69], v[66:67], v[10:11], v[62:63] neg_lo:[0,0,1] neg_hi:[0,0,1]
	v_pk_fma_f32 v[10:11], v[66:67], v[10:11], v[62:63]
	v_mov_b32_e32 v61, v64
	v_mov_b32_e32 v9, v68
	;; [unrolled: 1-line block ×3, first 2 shown]
	v_add_f32_e32 v63, v60, v8
	v_pk_add_f32 v[8:9], v[60:61], v[8:9] neg_lo:[0,1] neg_hi:[0,1]
	v_mov_b32_e32 v59, v39
	v_pk_add_f32 v[60:61], v[54:55], v[10:11]
	v_mov_b32_e32 v38, v39
	v_mov_b32_e32 v39, v54
	;; [unrolled: 1-line block ×10, first 2 shown]
	v_pk_add_f32 v[36:37], v[38:39], v[54:55] neg_lo:[0,1] neg_hi:[0,1]
	v_pk_add_f32 v[10:11], v[10:11], v[34:35] neg_lo:[0,1] neg_hi:[0,1]
	v_mov_b32_e32 v35, v9
	v_mov_b32_e32 v34, v10
	;; [unrolled: 1-line block ×4, first 2 shown]
	v_pk_add_f32 v[38:39], v[64:65], v[68:69]
	v_pk_add_f32 v[12:13], v[58:59], v[12:13]
	v_pk_add_f32 v[34:35], v[34:35], v[54:55] neg_lo:[0,1] neg_hi:[0,1]
	v_mov_b32_e32 v54, v8
	v_pk_add_f32 v[58:59], v[10:11], v[36:37]
	v_mov_b32_e32 v11, v37
	v_pk_add_f32 v[10:11], v[54:55], v[10:11] neg_lo:[0,1] neg_hi:[0,1]
	v_pk_add_f32 v[54:55], v[60:61], v[38:39]
	v_add_f32_e32 v65, v13, v63
	v_mov_b32_e32 v55, v39
	v_mov_b32_e32 v64, v12
	v_pk_add_f32 v[54:55], v[54:55], v[64:65]
	v_mov_b32_e32 v62, v12
	v_pk_add_f32 v[6:7], v[54:55], v[6:7]
	v_pk_mul_f32 v[92:93], v[34:35], s[24:25]
	v_mul_f32_e32 v61, v7, v94
	v_mul_f32_e32 v75, v6, v94
	v_fma_f32 v74, v6, v89, -v61
	v_fmac_f32_e32 v75, v7, v89
	v_pk_fma_f32 v[88:89], v[54:55], s[16:17], v[6:7] op_sel_hi:[1,0,1]
	s_mov_b32 s16, 0x3d64c772
	v_mov_b32_e32 v61, v39
	s_mov_b32 s17, 0x3f4a47b2
	v_pk_add_f32 v[6:7], v[62:63], v[60:61] neg_lo:[0,1] neg_hi:[0,1]
	s_mov_b32 s20, s17
	s_mov_b32 s21, s16
	v_pk_add_f32 v[34:35], v[38:39], v[12:13] neg_lo:[0,1] neg_hi:[0,1]
	v_pk_add_f32 v[90:91], v[58:59], v[8:9]
	v_pk_mul_f32 v[6:7], v[6:7], s[16:17]
	v_mov_b32_e32 v61, v13
	v_mov_b32_e32 v39, v63
	v_pk_add_f32 v[98:99], v[36:37], v[8:9] neg_lo:[0,1] neg_hi:[0,1]
	v_pk_mul_f32 v[8:9], v[34:35], s[20:21]
	v_pk_fma_f32 v[54:55], v[34:35], s[20:21], v[6:7]
	v_pk_fma_f32 v[58:59], v[10:11], s[22:23], v[92:93]
	v_pk_add_f32 v[12:13], v[60:61], v[38:39] neg_lo:[0,1] neg_hi:[0,1]
	v_pk_mul_f32 v[76:77], v[10:11], s[22:23]
	s_mov_b32 s20, 0x3f3bfb3b
	v_mov_b32_e32 v11, v7
	v_mov_b32_e32 v7, v9
	;; [unrolled: 1-line block ×5, first 2 shown]
	v_pk_fma_f32 v[104:105], v[12:13], s[20:21], v[6:7] op_sel_hi:[1,0,1] neg_lo:[0,0,1] neg_hi:[0,0,1]
	v_add_u32_e32 v6, 24, v87
	v_mul_u32_u24_e32 v2, 6, v87
	s_mov_b32 s16, 0x3ee1c552
	v_pk_fma_f32 v[10:11], v[12:13], s[20:21], v[10:11] op_sel_hi:[1,0,1] neg_lo:[1,0,1] neg_hi:[1,0,1]
	v_pk_fma_f32 v[34:35], v[98:99], s[18:19], v[34:35] op_sel_hi:[1,0,1] neg_lo:[1,0,1] neg_hi:[1,0,1]
	v_mul_lo_u32 v6, v16, v6
	v_add_u32_e32 v8, 48, v87
	v_lshlrev_b32_e32 v78, 3, v2
	v_pk_add_f32 v[54:55], v[54:55], v[88:89]
	v_pk_fma_f32 v[58:59], v[90:91], s[16:17], v[58:59] op_sel_hi:[1,0,1]
	v_pk_add_f32 v[10:11], v[10:11], v[88:89]
	v_pk_fma_f32 v[34:35], v[90:91], s[16:17], v[34:35] op_sel_hi:[1,0,1]
	v_lshlrev_b32_sdwa v7, v1, v6 dst_sel:DWORD dst_unused:UNUSED_PAD src0_sel:DWORD src1_sel:BYTE_0
	v_lshlrev_b32_sdwa v6, v1, v6 dst_sel:DWORD dst_unused:UNUSED_PAD src0_sel:DWORD src1_sel:BYTE_1
	v_mul_lo_u32 v8, v16, v8
	global_load_dwordx4 v[2:5], v78, s[14:15] offset:176
	v_pk_add_f32 v[94:95], v[58:59], v[54:55]
	v_pk_add_f32 v[96:97], v[54:55], v[58:59] neg_lo:[0,1] neg_hi:[0,1]
	v_pk_add_f32 v[100:101], v[34:35], v[10:11]
	v_pk_add_f32 v[102:103], v[10:11], v[34:35] neg_lo:[0,1] neg_hi:[0,1]
	v_lshlrev_b32_sdwa v9, v1, v8 dst_sel:DWORD dst_unused:UNUSED_PAD src0_sel:DWORD src1_sel:BYTE_0
	v_lshlrev_b32_sdwa v8, v1, v8 dst_sel:DWORD dst_unused:UNUSED_PAD src0_sel:DWORD src1_sel:BYTE_1
	global_load_dwordx2 v[38:39], v7, s[0:1]
	global_load_dwordx2 v[54:55], v6, s[0:1] offset:2048
	global_load_dwordx2 v[34:35], v9, s[0:1]
	global_load_dwordx2 v[36:37], v8, s[0:1] offset:2048
	v_add_u32_e32 v6, 0x48, v87
	v_mul_lo_u32 v6, v16, v6
	v_or_b32_e32 v8, 0x60, v87
	v_lshlrev_b32_sdwa v7, v1, v6 dst_sel:DWORD dst_unused:UNUSED_PAD src0_sel:DWORD src1_sel:BYTE_0
	v_lshlrev_b32_sdwa v6, v1, v6 dst_sel:DWORD dst_unused:UNUSED_PAD src0_sel:DWORD src1_sel:BYTE_1
	v_mul_lo_u32 v8, v16, v8
	v_lshlrev_b32_sdwa v9, v1, v8 dst_sel:DWORD dst_unused:UNUSED_PAD src0_sel:DWORD src1_sel:BYTE_0
	v_lshlrev_b32_sdwa v8, v1, v8 dst_sel:DWORD dst_unused:UNUSED_PAD src0_sel:DWORD src1_sel:BYTE_1
	global_load_dwordx2 v[62:63], v7, s[0:1]
	global_load_dwordx2 v[64:65], v6, s[0:1] offset:2048
	global_load_dwordx2 v[58:59], v9, s[0:1]
	global_load_dwordx2 v[60:61], v8, s[0:1] offset:2048
	v_add_u32_e32 v6, 0x78, v87
	v_mul_lo_u32 v6, v16, v6
	v_lshlrev_b32_sdwa v76, v1, v6 dst_sel:DWORD dst_unused:UNUSED_PAD src0_sel:DWORD src1_sel:BYTE_0
	v_lshlrev_b32_sdwa v79, v1, v6 dst_sel:DWORD dst_unused:UNUSED_PAD src0_sel:DWORD src1_sel:BYTE_1
	v_add_u32_e32 v6, 0x90, v87
	v_mul_lo_u32 v6, v16, v6
	v_lshlrev_b32_sdwa v87, v1, v6 dst_sel:DWORD dst_unused:UNUSED_PAD src0_sel:DWORD src1_sel:BYTE_0
	v_lshlrev_b32_sdwa v1, v1, v6 dst_sel:DWORD dst_unused:UNUSED_PAD src0_sel:DWORD src1_sel:BYTE_1
	global_load_dwordx2 v[70:71], v76, s[0:1]
	global_load_dwordx2 v[72:73], v79, s[0:1] offset:2048
	global_load_dwordx2 v[66:67], v87, s[0:1]
	global_load_dwordx2 v[68:69], v1, s[0:1] offset:2048
	global_load_dwordx4 v[10:13], v78, s[14:15] offset:208
	global_load_dwordx4 v[6:9], v78, s[14:15] offset:192
	v_cmp_gt_u32_e64 s[0:1], s19, v0
	v_mul_f32_e32 v0, v97, v106
	v_mov_b32_e32 v93, v77
	v_fma_f32 v78, v94, v109, -v0
	v_mul_f32_e32 v0, v103, v107
	v_fma_f32 v76, v100, v110, -v0
	v_pk_fma_f32 v[0:1], v[98:99], s[18:19], v[92:93] op_sel_hi:[1,0,1] neg_lo:[0,0,1] neg_hi:[0,0,1]
	v_pk_add_f32 v[88:89], v[104:105], v[88:89]
	v_pk_fma_f32 v[0:1], v[90:91], s[16:17], v[0:1] op_sel_hi:[1,0,1]
	v_mov_b32_e32 v98, v102
	v_pk_add_f32 v[90:91], v[88:89], v[0:1] neg_lo:[0,1] neg_hi:[0,1]
	v_pk_add_f32 v[0:1], v[88:89], v[0:1]
	v_mov_b32_e32 v89, v90
	v_mov_b32_e32 v88, v1
	v_pk_mul_f32 v[52:53], v[88:89], v[52:53] op_sel_hi:[1,0]
	v_mov_b32_e32 v88, v90
	v_mov_b32_e32 v89, v1
	v_mul_f32_e32 v1, v91, v108
	v_pk_fma_f32 v[88:89], v[88:89], v[56:57], v[52:53] op_sel_hi:[1,0,1]
	v_pk_fma_f32 v[56:57], v[90:91], v[56:57], v[52:53] neg_lo:[0,0,1] neg_hi:[0,0,1]
	v_fma_f32 v52, v0, v111, -v1
	v_mul_f32_e32 v53, v0, v108
	v_mov_b32_e32 v0, v101
	v_mov_b32_e32 v1, v102
	;; [unrolled: 1-line block ×3, first 2 shown]
	v_pk_mul_f32 v[0:1], v[0:1], v[50:51] op_sel_hi:[1,0]
	v_mov_b32_e32 v92, v96
	v_pk_fma_f32 v[50:51], v[102:103], v[46:47], v[0:1] neg_lo:[0,0,1] neg_hi:[0,0,1]
	v_pk_fma_f32 v[0:1], v[98:99], v[46:47], v[0:1] op_sel_hi:[1,0,1]
	v_mov_b32_e32 v46, v95
	v_mov_b32_e32 v47, v96
	;; [unrolled: 1-line block ×3, first 2 shown]
	v_pk_mul_f32 v[48:49], v[46:47], v[48:49] op_sel_hi:[1,0]
	v_mul_f32_e32 v79, v94, v106
	v_mul_f32_e32 v77, v100, v107
	v_pk_fma_f32 v[46:47], v[96:97], v[44:45], v[48:49] neg_lo:[0,0,1] neg_hi:[0,0,1]
	v_pk_fma_f32 v[44:45], v[92:93], v[44:45], v[48:49] op_sel_hi:[1,0,1]
	v_fmac_f32_e32 v79, v97, v109
	v_fmac_f32_e32 v77, v103, v110
	v_mov_b32_e32 v57, v89
	v_fmac_f32_e32 v53, v91, v111
	v_mov_b32_e32 v51, v1
	v_mov_b32_e32 v47, v45
	s_cbranch_vccnz .LBB0_16
; %bb.15:
	v_mad_u64_u32 v[0:1], s[2:3], s4, v14, 0
	v_mov_b32_e32 v44, v1
	v_mad_u64_u32 v[44:45], s[2:3], s5, v14, v[44:45]
	v_mov_b32_e32 v1, v44
	;; [unrolled: 2-line block ×3, first 2 shown]
	v_mad_u64_u32 v[48:49], s[2:3], s9, v23, v[48:49]
	s_lshl_b64 s[2:3], s[6:7], 3
	s_add_u32 s2, s10, s2
	s_addc_u32 s3, s11, s3
	v_mov_b32_e32 v45, v48
	v_lshl_add_u64 v[0:1], v[0:1], 3, s[2:3]
	v_lshl_add_u64 v[44:45], v[44:45], 3, v[0:1]
	global_store_dwordx2 v[44:45], v[74:75], off
	v_mad_u64_u32 v[44:45], s[2:3], s8, v81, 0
	v_mov_b32_e32 v48, v45
	v_mad_u64_u32 v[48:49], s[2:3], s9, v81, v[48:49]
	v_mov_b32_e32 v45, v48
	v_lshl_add_u64 v[44:45], v[44:45], 3, v[0:1]
	global_store_dwordx2 v[44:45], v[78:79], off
	v_mad_u64_u32 v[44:45], s[2:3], s8, v82, 0
	v_mov_b32_e32 v48, v45
	v_mad_u64_u32 v[48:49], s[2:3], s9, v82, v[48:49]
	v_mov_b32_e32 v45, v48
	;; [unrolled: 6-line block ×6, first 2 shown]
	v_lshl_add_u64 v[44:45], v[44:45], 3, v[0:1]
	s_and_b64 s[2:3], s[0:1], exec
	global_store_dwordx2 v[44:45], v[46:47], off
	s_cbranch_execz .LBB0_17
	s_branch .LBB0_20
.LBB0_16:
	s_mov_b64 s[2:3], 0
                                        ; implicit-def: $vgpr0_vgpr1
.LBB0_17:
	v_cmp_gt_u64_e32 vcc, s[12:13], v[16:17]
                                        ; implicit-def: $vgpr0_vgpr1
	s_and_saveexec_b64 s[12:13], vcc
	s_cbranch_execz .LBB0_19
; %bb.18:
	v_mad_u64_u32 v[0:1], s[14:15], s4, v14, 0
	v_mov_b32_e32 v16, v1
	v_mad_u64_u32 v[16:17], s[4:5], s5, v14, v[16:17]
	v_mov_b32_e32 v1, v16
	;; [unrolled: 2-line block ×3, first 2 shown]
	v_mad_u64_u32 v[44:45], s[4:5], s9, v23, v[14:15]
	s_lshl_b64 s[4:5], s[6:7], 3
	s_add_u32 s4, s10, s4
	s_addc_u32 s5, s11, s5
	v_mov_b32_e32 v17, v44
	v_lshl_add_u64 v[0:1], v[0:1], 3, s[4:5]
	v_lshl_add_u64 v[16:17], v[16:17], 3, v[0:1]
	global_store_dwordx2 v[16:17], v[74:75], off
	v_mad_u64_u32 v[16:17], s[4:5], s8, v81, 0
	v_mov_b32_e32 v14, v17
	v_mad_u64_u32 v[44:45], s[4:5], s9, v81, v[14:15]
	v_mov_b32_e32 v17, v44
	v_lshl_add_u64 v[16:17], v[16:17], 3, v[0:1]
	global_store_dwordx2 v[16:17], v[78:79], off
	v_mad_u64_u32 v[16:17], s[4:5], s8, v82, 0
	v_mov_b32_e32 v14, v17
	v_mad_u64_u32 v[44:45], s[4:5], s9, v82, v[14:15]
	v_mov_b32_e32 v17, v44
	v_lshl_add_u64 v[16:17], v[16:17], 3, v[0:1]
	v_add_u32_e32 v44, 0x48, v23
	global_store_dwordx2 v[16:17], v[76:77], off
	v_mad_u64_u32 v[16:17], s[4:5], s8, v44, 0
	v_mov_b32_e32 v14, v17
	v_mad_u64_u32 v[44:45], s[4:5], s9, v44, v[14:15]
	v_mov_b32_e32 v17, v44
	v_lshl_add_u64 v[16:17], v[16:17], 3, v[0:1]
	v_or_b32_e32 v44, 0x60, v23
	global_store_dwordx2 v[16:17], v[56:57], off
	v_mad_u64_u32 v[16:17], s[4:5], s8, v44, 0
	v_mov_b32_e32 v14, v17
	v_mad_u64_u32 v[44:45], s[4:5], s9, v44, v[14:15]
	v_mov_b32_e32 v17, v44
	v_lshl_add_u64 v[16:17], v[16:17], 3, v[0:1]
	v_add_u32_e32 v44, 0x78, v23
	global_store_dwordx2 v[16:17], v[52:53], off
	v_mad_u64_u32 v[16:17], s[4:5], s8, v44, 0
	v_mov_b32_e32 v14, v17
	v_mad_u64_u32 v[44:45], s[4:5], s9, v44, v[14:15]
	v_mov_b32_e32 v17, v44
	v_lshl_add_u64 v[16:17], v[16:17], 3, v[0:1]
	v_or_b32_e32 v23, 0x90, v23
	global_store_dwordx2 v[16:17], v[50:51], off
	v_mad_u64_u32 v[16:17], s[4:5], s8, v23, 0
	v_mov_b32_e32 v14, v17
	v_mad_u64_u32 v[44:45], s[4:5], s9, v23, v[14:15]
	v_mov_b32_e32 v17, v44
	s_andn2_b64 s[2:3], s[2:3], exec
	s_and_b64 s[0:1], s[0:1], exec
	v_lshl_add_u64 v[16:17], v[16:17], 3, v[0:1]
	s_or_b64 s[2:3], s[2:3], s[0:1]
	global_store_dwordx2 v[16:17], v[46:47], off
.LBB0_19:
	s_or_b64 exec, exec, s[12:13]
.LBB0_20:
	s_and_saveexec_b64 s[0:1], s[2:3]
	s_cbranch_execnz .LBB0_22
; %bb.21:
	s_endpgm
.LBB0_22:
	s_waitcnt vmcnt(1)
	v_pk_mul_f32 v[50:51], v[30:31], v[10:11]
	v_mul_f32_e32 v77, v34, v37
	v_mov_b32_e32 v14, v51
	v_pk_fma_f32 v[50:51], v[30:31], v[10:11], v[14:15] neg_lo:[0,0,1] neg_hi:[0,0,1]
	v_mul_f32_e32 v14, v41, v43
	v_fma_f32 v56, v40, v42, -v14
	v_mul_f32_e32 v14, v39, v55
	v_fma_f32 v74, v38, v54, -v14
	;; [unrolled: 2-line block ×3, first 2 shown]
	v_fmac_f32_e32 v77, v35, v36
	v_mov_b32_e32 v14, v65
	v_pk_mul_f32 v[36:37], v[62:63], v[64:65] op_sel:[1,0] op_sel_hi:[0,1]
	v_pk_mul_f32 v[34:35], v[62:63], v[14:15] op_sel:[1,0] op_sel_hi:[0,1]
	v_mov_b32_e32 v14, v37
	v_mul_f32_e32 v57, v40, v43
	v_pk_fma_f32 v[36:37], v[62:63], v[64:65], v[14:15] op_sel:[1,0,0] op_sel_hi:[0,1,1]
	v_mul_f32_e32 v14, v59, v61
	v_fmac_f32_e32 v57, v41, v42
	v_mul_f32_e32 v75, v38, v55
	v_pk_fma_f32 v[34:35], v[62:63], v[64:65], v[34:35] neg_lo:[0,0,1] neg_hi:[0,0,1]
	v_fma_f32 v62, v58, v60, -v14
	v_mov_b32_e32 v14, v73
	v_pk_mul_f32 v[40:41], v[70:71], v[72:73] op_sel:[1,0] op_sel_hi:[0,1]
	v_fmac_f32_e32 v75, v39, v54
	v_pk_mul_f32 v[38:39], v[70:71], v[14:15] op_sel:[1,0] op_sel_hi:[0,1]
	v_mov_b32_e32 v14, v41
	v_pk_fma_f32 v[40:41], v[70:71], v[72:73], v[14:15] op_sel:[1,0,0] op_sel_hi:[0,1,1]
	v_mov_b32_e32 v14, v69
	v_pk_mul_f32 v[52:53], v[66:67], v[68:69] op_sel:[1,0] op_sel_hi:[0,1]
	v_mov_b32_e32 v48, v5
	s_waitcnt vmcnt(0)
	v_mov_b32_e32 v49, v6
	v_pk_mul_f32 v[42:43], v[66:67], v[14:15] op_sel:[1,0] op_sel_hi:[0,1]
	v_mov_b32_e32 v14, v53
	v_mul_f32_e32 v5, v25, v5
	v_mov_b32_e32 v54, v24
	v_mov_b32_e32 v55, v20
	v_pk_fma_f32 v[52:53], v[66:67], v[68:69], v[14:15] op_sel:[1,0,0] op_sel_hi:[0,1,1]
	v_fma_f32 v5, v24, v4, -v5
	v_pk_mul_f32 v[48:49], v[54:55], v[48:49]
	v_mov_b32_e32 v24, v21
	v_mov_b32_e32 v14, v7
	;; [unrolled: 1-line block ×9, first 2 shown]
	v_mul_f32_e32 v26, v26, v3
	v_pk_fma_f32 v[20:21], v[4:5], v[14:15], v[48:49] op_sel:[0,0,1] op_sel_hi:[0,1,0] neg_lo:[1,0,0] neg_hi:[1,0,0]
	v_pk_fma_f32 v[24:25], v[24:25], v[54:55], v[48:49] op_sel:[0,0,1] op_sel_hi:[1,1,0]
	v_mov_b32_e32 v49, v6
	v_mov_b32_e32 v6, v3
	v_fmac_f32_e32 v26, v27, v2
	v_mov_b32_e32 v48, v2
	v_pk_mul_f32 v[2:3], v[44:45], v[6:7]
	v_mov_b32_e32 v45, v10
	v_pk_fma_f32 v[6:7], v[46:47], v[48:49], v[2:3] neg_lo:[0,0,1] neg_hi:[0,0,1]
	v_pk_fma_f32 v[2:3], v[46:47], v[48:49], v[2:3]
	v_mov_b32_e32 v46, v29
	v_mov_b32_e32 v47, v30
	;; [unrolled: 1-line block ×5, first 2 shown]
	v_pk_mul_f32 v[10:11], v[46:47], v[10:11]
	v_mov_b32_e32 v16, v33
	v_mov_b32_e32 v17, v22
	v_pk_fma_f32 v[30:31], v[22:23], v[8:9], v[10:11] op_sel_hi:[0,1,1] neg_lo:[0,0,1] neg_hi:[0,0,1]
	v_pk_fma_f32 v[10:11], v[22:23], v[44:45], v[10:11]
	v_mov_b32_e32 v23, v8
	v_mov_b32_e32 v8, v13
	v_mul_f32_e32 v32, v32, v13
	v_mov_b32_e32 v22, v12
	v_pk_mul_f32 v[8:9], v[16:17], v[8:9]
	v_fmac_f32_e32 v32, v33, v12
	v_pk_fma_f32 v[12:13], v[28:29], v[22:23], v[8:9] neg_lo:[0,0,1] neg_hi:[0,0,1]
	v_pk_fma_f32 v[8:9], v[28:29], v[22:23], v[8:9]
	v_mov_b32_e32 v7, v3
	v_mov_b32_e32 v13, v9
	;; [unrolled: 1-line block ×9, first 2 shown]
	v_pk_add_f32 v[6:7], v[6:7], v[12:13]
	v_mov_b32_e32 v8, v9
	v_mov_b32_e32 v9, v30
	;; [unrolled: 1-line block ×4, first 2 shown]
	v_add_f32_e32 v51, v26, v32
	v_pk_add_f32 v[16:17], v[26:27], v[32:33] neg_lo:[0,1] neg_hi:[0,1]
	v_add_f32_e32 v2, v5, v50
	v_pk_add_f32 v[4:5], v[4:5], v[10:11] neg_lo:[0,1] neg_hi:[0,1]
	v_pk_add_f32 v[10:11], v[20:21], v[30:31]
	v_pk_add_f32 v[8:9], v[8:9], v[12:13] neg_lo:[0,1] neg_hi:[0,1]
	s_mov_b32 s6, 0x3eae86e6
	v_add_f32_e32 v12, v2, v6
	v_add_f32_e32 v21, v11, v51
	v_mov_b32_e32 v50, v10
	v_mov_b32_e32 v3, v7
	;; [unrolled: 1-line block ×8, first 2 shown]
	s_mov_b32 s2, 0x3d64c772
	s_mov_b32 s7, 0xbf08b237
	v_pk_add_f32 v[22:23], v[50:51], v[2:3] neg_lo:[0,1] neg_hi:[0,1]
	v_pk_add_f32 v[26:27], v[8:9], v[4:5]
	v_pk_add_f32 v[28:29], v[28:29], v[30:31] neg_lo:[0,1] neg_hi:[0,1]
	v_mov_b32_e32 v30, v16
	v_mov_b32_e32 v9, v5
	v_pk_add_f32 v[12:13], v[12:13], v[20:21]
	s_mov_b32 s3, 0x3f4a47b2
	s_mov_b32 s10, s7
	;; [unrolled: 1-line block ×3, first 2 shown]
	v_pk_add_f32 v[24:25], v[6:7], v[10:11] neg_lo:[0,1] neg_hi:[0,1]
	v_pk_add_f32 v[8:9], v[30:31], v[8:9] neg_lo:[0,1] neg_hi:[0,1]
	v_pk_add_f32 v[18:19], v[18:19], v[12:13]
	s_mov_b32 s0, 0xbf955555
	v_pk_mul_f32 v[22:23], v[22:23], s[2:3]
	s_mov_b32 s4, s3
	s_mov_b32 s5, s2
	v_pk_mul_f32 v[28:29], v[28:29], s[10:11]
	v_pk_add_f32 v[20:21], v[26:27], v[16:17]
	v_pk_mul_f32 v[26:27], v[24:25], s[4:5]
	s_mov_b32 s2, 0x3ee1c552
	v_pk_mul_f32 v[30:31], v[8:9], s[6:7]
	v_pk_fma_f32 v[12:13], v[12:13], s[0:1], v[18:19] op_sel_hi:[1,0,1]
	v_pk_fma_f32 v[24:25], v[24:25], s[4:5], v[22:23]
	v_pk_fma_f32 v[8:9], v[8:9], s[6:7], v[28:29]
	v_pk_add_f32 v[24:25], v[24:25], v[12:13]
	v_pk_fma_f32 v[8:9], v[20:21], s[2:3], v[8:9] op_sel_hi:[1,0,1]
	v_mul_f32_e32 v3, v19, v57
	v_pk_add_f32 v[32:33], v[8:9], v[24:25]
	v_pk_add_f32 v[8:9], v[24:25], v[8:9] neg_lo:[0,1] neg_hi:[0,1]
	v_fma_f32 v44, v18, v56, -v3
	v_mul_f32_e32 v3, v9, v75
	v_mul_f32_e32 v45, v18, v57
	v_fma_f32 v18, v32, v74, -v3
	v_mov_b32_e32 v3, v11
	v_mov_b32_e32 v7, v51
	v_pk_add_f32 v[2:3], v[2:3], v[6:7] neg_lo:[0,1] neg_hi:[0,1]
	v_pk_add_f32 v[4:5], v[4:5], v[16:17] neg_lo:[0,1] neg_hi:[0,1]
	s_mov_b32 s0, 0x3f3bfb3b
	s_mov_b32 s4, 0x3f5ff5aa
	v_mov_b32_e32 v6, v26
	v_mov_b32_e32 v7, v23
	;; [unrolled: 1-line block ×6, first 2 shown]
	v_pk_fma_f32 v[6:7], v[2:3], s[0:1], v[6:7] op_sel_hi:[1,0,1] neg_lo:[1,0,1] neg_hi:[1,0,1]
	v_pk_fma_f32 v[10:11], v[4:5], s[4:5], v[10:11] op_sel_hi:[1,0,1] neg_lo:[1,0,1] neg_hi:[1,0,1]
	v_pk_fma_f32 v[2:3], v[2:3], s[0:1], v[22:23] op_sel_hi:[1,0,1] neg_lo:[0,0,1] neg_hi:[0,0,1]
	v_pk_fma_f32 v[4:5], v[4:5], s[4:5], v[28:29] op_sel_hi:[1,0,1] neg_lo:[0,0,1] neg_hi:[0,0,1]
	v_pk_add_f32 v[2:3], v[2:3], v[12:13]
	v_pk_fma_f32 v[4:5], v[20:21], s[2:3], v[4:5] op_sel_hi:[1,0,1]
	v_mul_f32_e32 v58, v58, v61
	v_pk_add_f32 v[6:7], v[6:7], v[12:13]
	v_pk_add_f32 v[12:13], v[2:3], v[4:5] neg_lo:[0,1] neg_hi:[0,1]
	v_pk_add_f32 v[2:3], v[2:3], v[4:5]
	v_fmac_f32_e32 v58, v59, v60
	v_pk_fma_f32 v[10:11], v[20:21], s[2:3], v[10:11] op_sel_hi:[1,0,1]
	v_mov_b32_e32 v20, v3
	v_mov_b32_e32 v21, v12
	v_pk_add_f32 v[16:17], v[10:11], v[6:7]
	v_pk_add_f32 v[6:7], v[6:7], v[10:11] neg_lo:[0,1] neg_hi:[0,1]
	v_mov_b32_e32 v4, v12
	v_mov_b32_e32 v5, v3
	v_pk_mul_f32 v[20:21], v[20:21], v[36:37] op_sel_hi:[1,0]
	v_mul_f32_e32 v3, v13, v58
	v_pk_fma_f32 v[22:23], v[12:13], v[34:35], v[20:21] neg_lo:[0,0,1] neg_hi:[0,0,1]
	v_pk_fma_f32 v[4:5], v[4:5], v[34:35], v[20:21] op_sel_hi:[1,0,1]
	v_fma_f32 v20, v2, v62, -v3
	v_mul_f32_e32 v21, v2, v58
	v_mov_b32_e32 v2, v17
	v_mov_b32_e32 v3, v6
	v_pk_fma_f32 v[38:39], v[70:71], v[72:73], v[38:39] neg_lo:[0,0,1] neg_hi:[0,0,1]
	v_mov_b32_e32 v10, v6
	v_mov_b32_e32 v11, v17
	v_mul_f32_e32 v47, v16, v77
	v_pk_mul_f32 v[2:3], v[2:3], v[40:41] op_sel_hi:[1,0]
	v_mul_f32_e32 v14, v7, v77
	v_fmac_f32_e32 v47, v7, v76
	v_fmac_f32_e32 v21, v13, v62
	v_pk_fma_f32 v[6:7], v[6:7], v[38:39], v[2:3] neg_lo:[0,0,1] neg_hi:[0,0,1]
	v_pk_fma_f32 v[2:3], v[10:11], v[38:39], v[2:3] op_sel_hi:[1,0,1]
	v_mad_u64_u32 v[12:13], s[0:1], s8, v15, 0
	v_mov_b32_e32 v2, v13
	v_fma_f32 v46, v16, v76, -v14
	v_mad_u64_u32 v[14:15], s[0:1], s9, v15, v[2:3]
	v_mov_b32_e32 v13, v14
	v_fmac_f32_e32 v45, v19, v56
	v_lshl_add_u64 v[12:13], v[12:13], 3, v[0:1]
	v_add_u32_e32 v4, 38, v80
	global_store_dwordx2 v[12:13], v[44:45], off
	v_mad_u64_u32 v[12:13], s[0:1], s8, v4, 0
	v_mov_b32_e32 v2, v13
	v_mad_u64_u32 v[14:15], s[0:1], s9, v4, v[2:3]
	v_mul_f32_e32 v19, v32, v75
	v_mov_b32_e32 v13, v14
	v_fmac_f32_e32 v19, v9, v74
	v_lshl_add_u64 v[12:13], v[12:13], 3, v[0:1]
	v_add_u32_e32 v4, 62, v80
	global_store_dwordx2 v[12:13], v[18:19], off
	v_mad_u64_u32 v[12:13], s[0:1], s8, v4, 0
	v_mov_b32_e32 v2, v13
	v_mad_u64_u32 v[14:15], s[0:1], s9, v4, v[2:3]
	v_mov_b32_e32 v13, v14
	v_lshl_add_u64 v[12:13], v[12:13], 3, v[0:1]
	v_add_u32_e32 v4, 0x56, v80
	global_store_dwordx2 v[12:13], v[46:47], off
	v_mad_u64_u32 v[12:13], s[0:1], s8, v4, 0
	v_mov_b32_e32 v2, v13
	v_mad_u64_u32 v[14:15], s[0:1], s9, v4, v[2:3]
	v_add_u32_e32 v7, 0x6e, v80
	v_mov_b32_e32 v13, v14
	v_mov_b32_e32 v23, v5
	v_mad_u64_u32 v[4:5], s[0:1], s8, v7, 0
	v_lshl_add_u64 v[12:13], v[12:13], 3, v[0:1]
	v_mov_b32_e32 v2, v5
	global_store_dwordx2 v[12:13], v[22:23], off
	v_mad_u64_u32 v[12:13], s[0:1], s9, v7, v[2:3]
	v_mov_b32_e32 v5, v12
	v_lshl_add_u64 v[4:5], v[4:5], 3, v[0:1]
	v_add_u32_e32 v7, 0x86, v80
	global_store_dwordx2 v[4:5], v[20:21], off
	v_mad_u64_u32 v[4:5], s[0:1], s8, v7, 0
	v_mov_b32_e32 v2, v5
	v_mad_u64_u32 v[12:13], s[0:1], s9, v7, v[2:3]
	v_mov_b32_e32 v5, v12
	v_lshl_add_u64 v[4:5], v[4:5], 3, v[0:1]
	v_mov_b32_e32 v7, v3
	global_store_dwordx2 v[4:5], v[6:7], off
	v_add_u32_e32 v5, 0x9e, v80
	v_mad_u64_u32 v[2:3], s[0:1], s8, v5, 0
	v_mov_b32_e32 v10, v33
	v_mov_b32_e32 v11, v8
	;; [unrolled: 1-line block ×3, first 2 shown]
	v_pk_fma_f32 v[42:43], v[66:67], v[68:69], v[42:43] neg_lo:[0,0,1] neg_hi:[0,0,1]
	v_mov_b32_e32 v24, v8
	v_mov_b32_e32 v25, v33
	v_pk_mul_f32 v[10:11], v[10:11], v[52:53] op_sel_hi:[1,0]
	v_mad_u64_u32 v[4:5], s[0:1], s9, v5, v[4:5]
	v_pk_fma_f32 v[8:9], v[8:9], v[42:43], v[10:11] neg_lo:[0,0,1] neg_hi:[0,0,1]
	v_pk_fma_f32 v[10:11], v[24:25], v[42:43], v[10:11] op_sel_hi:[1,0,1]
	v_mov_b32_e32 v3, v4
	v_lshl_add_u64 v[0:1], v[2:3], 3, v[0:1]
	v_mov_b32_e32 v9, v11
	global_store_dwordx2 v[0:1], v[8:9], off
	s_endpgm
	.section	.rodata,"a",@progbits
	.p2align	6, 0x0
	.amdhsa_kernel fft_rtc_fwd_len168_factors_2_3_4_7_wgs_252_tpt_14_dim2_sp_ip_CI_sbcc_twdbase8_2step_dirReg
		.amdhsa_group_segment_fixed_size 0
		.amdhsa_private_segment_fixed_size 0
		.amdhsa_kernarg_size 88
		.amdhsa_user_sgpr_count 2
		.amdhsa_user_sgpr_dispatch_ptr 0
		.amdhsa_user_sgpr_queue_ptr 0
		.amdhsa_user_sgpr_kernarg_segment_ptr 1
		.amdhsa_user_sgpr_dispatch_id 0
		.amdhsa_user_sgpr_kernarg_preload_length 0
		.amdhsa_user_sgpr_kernarg_preload_offset 0
		.amdhsa_user_sgpr_private_segment_size 0
		.amdhsa_uses_dynamic_stack 0
		.amdhsa_enable_private_segment 0
		.amdhsa_system_sgpr_workgroup_id_x 1
		.amdhsa_system_sgpr_workgroup_id_y 0
		.amdhsa_system_sgpr_workgroup_id_z 0
		.amdhsa_system_sgpr_workgroup_info 0
		.amdhsa_system_vgpr_workitem_id 0
		.amdhsa_next_free_vgpr 112
		.amdhsa_next_free_sgpr 26
		.amdhsa_accum_offset 112
		.amdhsa_reserve_vcc 1
		.amdhsa_float_round_mode_32 0
		.amdhsa_float_round_mode_16_64 0
		.amdhsa_float_denorm_mode_32 3
		.amdhsa_float_denorm_mode_16_64 3
		.amdhsa_dx10_clamp 1
		.amdhsa_ieee_mode 1
		.amdhsa_fp16_overflow 0
		.amdhsa_tg_split 0
		.amdhsa_exception_fp_ieee_invalid_op 0
		.amdhsa_exception_fp_denorm_src 0
		.amdhsa_exception_fp_ieee_div_zero 0
		.amdhsa_exception_fp_ieee_overflow 0
		.amdhsa_exception_fp_ieee_underflow 0
		.amdhsa_exception_fp_ieee_inexact 0
		.amdhsa_exception_int_div_zero 0
	.end_amdhsa_kernel
	.text
.Lfunc_end0:
	.size	fft_rtc_fwd_len168_factors_2_3_4_7_wgs_252_tpt_14_dim2_sp_ip_CI_sbcc_twdbase8_2step_dirReg, .Lfunc_end0-fft_rtc_fwd_len168_factors_2_3_4_7_wgs_252_tpt_14_dim2_sp_ip_CI_sbcc_twdbase8_2step_dirReg
                                        ; -- End function
	.section	.AMDGPU.csdata,"",@progbits
; Kernel info:
; codeLenInByte = 8620
; NumSgprs: 32
; NumVgprs: 112
; NumAgprs: 0
; TotalNumVgprs: 112
; ScratchSize: 0
; MemoryBound: 0
; FloatMode: 240
; IeeeMode: 1
; LDSByteSize: 0 bytes/workgroup (compile time only)
; SGPRBlocks: 3
; VGPRBlocks: 13
; NumSGPRsForWavesPerEU: 32
; NumVGPRsForWavesPerEU: 112
; AccumOffset: 112
; Occupancy: 4
; WaveLimiterHint : 1
; COMPUTE_PGM_RSRC2:SCRATCH_EN: 0
; COMPUTE_PGM_RSRC2:USER_SGPR: 2
; COMPUTE_PGM_RSRC2:TRAP_HANDLER: 0
; COMPUTE_PGM_RSRC2:TGID_X_EN: 1
; COMPUTE_PGM_RSRC2:TGID_Y_EN: 0
; COMPUTE_PGM_RSRC2:TGID_Z_EN: 0
; COMPUTE_PGM_RSRC2:TIDIG_COMP_CNT: 0
; COMPUTE_PGM_RSRC3_GFX90A:ACCUM_OFFSET: 27
; COMPUTE_PGM_RSRC3_GFX90A:TG_SPLIT: 0
	.text
	.p2alignl 6, 3212836864
	.fill 256, 4, 3212836864
	.type	__hip_cuid_dd8b2685c5d2d0b4,@object ; @__hip_cuid_dd8b2685c5d2d0b4
	.section	.bss,"aw",@nobits
	.globl	__hip_cuid_dd8b2685c5d2d0b4
__hip_cuid_dd8b2685c5d2d0b4:
	.byte	0                               ; 0x0
	.size	__hip_cuid_dd8b2685c5d2d0b4, 1

	.ident	"AMD clang version 19.0.0git (https://github.com/RadeonOpenCompute/llvm-project roc-6.4.0 25133 c7fe45cf4b819c5991fe208aaa96edf142730f1d)"
	.section	".note.GNU-stack","",@progbits
	.addrsig
	.addrsig_sym __hip_cuid_dd8b2685c5d2d0b4
	.amdgpu_metadata
---
amdhsa.kernels:
  - .agpr_count:     0
    .args:
      - .actual_access:  read_only
        .address_space:  global
        .offset:         0
        .size:           8
        .value_kind:     global_buffer
      - .address_space:  global
        .offset:         8
        .size:           8
        .value_kind:     global_buffer
      - .actual_access:  read_only
        .address_space:  global
        .offset:         16
        .size:           8
        .value_kind:     global_buffer
      - .actual_access:  read_only
        .address_space:  global
        .offset:         24
        .size:           8
        .value_kind:     global_buffer
      - .offset:         32
        .size:           8
        .value_kind:     by_value
      - .actual_access:  read_only
        .address_space:  global
        .offset:         40
        .size:           8
        .value_kind:     global_buffer
      - .actual_access:  read_only
        .address_space:  global
        .offset:         48
        .size:           8
        .value_kind:     global_buffer
      - .offset:         56
        .size:           4
        .value_kind:     by_value
      - .actual_access:  read_only
        .address_space:  global
        .offset:         64
        .size:           8
        .value_kind:     global_buffer
      - .actual_access:  read_only
        .address_space:  global
        .offset:         72
        .size:           8
        .value_kind:     global_buffer
      - .address_space:  global
        .offset:         80
        .size:           8
        .value_kind:     global_buffer
    .group_segment_fixed_size: 0
    .kernarg_segment_align: 8
    .kernarg_segment_size: 88
    .language:       OpenCL C
    .language_version:
      - 2
      - 0
    .max_flat_workgroup_size: 252
    .name:           fft_rtc_fwd_len168_factors_2_3_4_7_wgs_252_tpt_14_dim2_sp_ip_CI_sbcc_twdbase8_2step_dirReg
    .private_segment_fixed_size: 0
    .sgpr_count:     32
    .sgpr_spill_count: 0
    .symbol:         fft_rtc_fwd_len168_factors_2_3_4_7_wgs_252_tpt_14_dim2_sp_ip_CI_sbcc_twdbase8_2step_dirReg.kd
    .uniform_work_group_size: 1
    .uses_dynamic_stack: false
    .vgpr_count:     112
    .vgpr_spill_count: 0
    .wavefront_size: 64
amdhsa.target:   amdgcn-amd-amdhsa--gfx950
amdhsa.version:
  - 1
  - 2
...

	.end_amdgpu_metadata
